;; amdgpu-corpus repo=ROCm/aiter kind=harvested arch=n/a opt=n/a

/root/src/amdgpu-assembly/repos/ROCm__aiter/hsa/gfx950/f4gemm/f4gemm_bf16_per1x32Fp4_BpreShuffle_128x256.co:	file format elf64-amdgpu

Disassembly of section .text:

0000000000002c00 <_ZN5aiter42f4gemm_bf16_per1x32Fp4_BpreShuffle_128x256E>:
	s_and_b32 s1, s1, 0xffff                                   // 000000002C00: 8601FF01 0000FFFF
	s_load_dwordx2 s[4:5], s[0:1], 0x0                         // 000000002C08: C0060100 00000000
	s_load_dwordx2 s[8:9], s[0:1], 0x10                        // 000000002C10: C0060200 00000010
	s_load_dwordx2 s[12:13], s[0:1], 0x20                      // 000000002C18: C0060300 00000020
	s_load_dwordx2 s[16:17], s[0:1], 0x30                      // 000000002C20: C0060400 00000030
	s_load_dword s41, s[0:1], 0x40                             // 000000002C28: C0020A40 00000040
	s_load_dword s42, s[0:1], 0x50                             // 000000002C30: C0020A80 00000050
	s_load_dword s36, s[0:1], 0x80                             // 000000002C38: C0020900 00000080
	s_load_dword s37, s[0:1], 0xa0                             // 000000002C40: C0020940 000000A0
	s_load_dword s38, s[0:1], 0xc0                             // 000000002C48: C0020980 000000C0
	s_load_dword s43, s[0:1], 0xe0                             // 000000002C50: C0020AC0 000000E0
	s_load_dword s44, s[0:1], 0xf0                             // 000000002C58: C0020B00 000000F0
	s_load_dword s45, s[0:1], 0x100                            // 000000002C60: C0020B40 00000100
	s_load_dwordx2 s[20:21], s[0:1], 0x110                     // 000000002C68: C0060500 00000110
	s_load_dwordx2 s[24:25], s[0:1], 0x120                     // 000000002C70: C0060600 00000120
	s_load_dword s39, s[0:1], 0x130                            // 000000002C78: C00209C0 00000130
	s_load_dword s40, s[0:1], 0x150                            // 000000002C80: C0020A00 00000150
	v_lshrrev_b32_e32 v1, 10, v0                               // 000000002C88: 2002008A
	v_lshrrev_b32_e32 v2, 10, v1                               // 000000002C8C: 2004028A
	v_and_b32_e32 v2, 0x3ff, v2                                // 000000002C90: 260404FF 000003FF
	v_and_b32_e32 v1, 0x3ff, v1                                // 000000002C98: 260202FF 000003FF
	v_and_b32_e32 v0, 0x3ff, v0                                // 000000002CA0: 260000FF 000003FF
	v_lshrrev_b32_e32 v3, 6, v0                                // 000000002CA8: 20060086
	v_and_b32_e32 v0, 63, v0                                   // 000000002CAC: 260000BF
	s_mov_b32 s47, s2                                          // 000000002CB0: BEAF0002
	s_mov_b32 s48, s3                                          // 000000002CB4: BEB00003
	v_readfirstlane_b32 s46, v3                                // 000000002CB8: 7E5C0503
	s_waitcnt lgkmcnt(0)                                       // 000000002CBC: BF8CC07F
	s_add_u32 s51, s44, 0xff                                   // 000000002CC0: 8033FF2C 000000FF
	s_lshr_b32 s50, s51, 8                                     // 000000002CC8: 8F328833
	s_mul_i32 s49, s50, s48                                    // 000000002CCC: 92313032
	s_add_i32 s49, s49, s47                                    // 000000002CD0: 81312F31
	s_add_u32 s51, s43, 0x7f                                   // 000000002CD4: 8033FF2B 0000007F
	s_lshr_b32 s62, s51, 7                                     // 000000002CDC: 8F3E8733
	s_lshl_b32 s62, s62, 5                                     // 000000002CE0: 8E3E853E
	s_mov_b32 s47, 0                                           // 000000002CE4: BEAF0080

0000000000002ce8 <label_003A>:
	s_cmp_lt_i32 s49, s62                                      // 000000002CE8: BF043E31
	s_cbranch_scc1 label_003F                                  // 000000002CEC: BF850003
	s_sub_i32 s49, s49, s62                                    // 000000002CF0: 81B13E31
	s_add_i32 s47, s47, 32                                     // 000000002CF4: 812FA02F
	s_branch label_003A                                        // 000000002CF8: BF82FFFB

0000000000002cfc <label_003F>:
	s_sub_i32 s50, s50, s47                                    // 000000002CFC: 81B22F32
	s_cmp_lt_i32 s50, 32                                       // 000000002D00: BF04A032
	s_cbranch_scc1 label_0045                                  // 000000002D04: BF850003
	s_lshr_b32 s48, s49, 5                                     // 000000002D08: 8F308531
	s_and_b32 s62, s49, 31                                     // 000000002D0C: 863E9F31
	s_branch label_0065                                        // 000000002D10: BF820020

0000000000002d14 <label_0045>:
	v_cvt_f32_u32_e32 v4, s50                                  // 000000002D14: 7E080C32
	s_sub_i32 s48, 0, s50                                      // 000000002D18: 81B03280
	v_rcp_iflag_f32_e32 v4, v4                                 // 000000002D1C: 7E084704
	s_nop 0                                                    // 000000002D20: BF800000
	v_mul_f32_e32 v4, 0x4f7ffffe, v4                           // 000000002D24: 0A0808FF 4F7FFFFE
	v_cvt_u32_f32_e32 v4, v4                                   // 000000002D2C: 7E080F04
	v_mul_lo_u32 v5, s48, v4                                   // 000000002D30: D2850005 00020830
	v_mul_hi_u32 v5, v4, v5                                    // 000000002D38: D2860005 00020B04
	v_add_u32_e32 v4, v4, v5                                   // 000000002D40: 68080B04
	v_mul_hi_u32 v4, s49, v4                                   // 000000002D44: D2860004 00020831
	v_mul_lo_u32 v5, v4, s50                                   // 000000002D4C: D2850005 00006504
	v_sub_u32_e32 v7, s49, v5                                  // 000000002D54: 6A0E0A31
	v_add_u32_e32 v6, 1, v4                                    // 000000002D58: 680C0881
	v_cmp_le_u32_e32 vcc, s50, v7                              // 000000002D5C: 7D960E32
	v_subrev_u32_e32 v5, s50, v7                               // 000000002D60: 6C0A0E32
	s_nop 0                                                    // 000000002D64: BF800000
	v_cndmask_b32_e32 v4, v4, v6, vcc                          // 000000002D68: 00080D04
	v_cndmask_b32_e32 v7, v7, v5, vcc                          // 000000002D6C: 000E0B07
	v_add_u32_e32 v5, 1, v4                                    // 000000002D70: 680A0881
	v_cmp_le_u32_e32 vcc, s50, v7                              // 000000002D74: 7D960E32
	s_nop 1                                                    // 000000002D78: BF800001
	v_cndmask_b32_e32 v7, v4, v5, vcc                          // 000000002D7C: 000E0B04
	s_nop 3                                                    // 000000002D80: BF800003
	v_readfirstlane_b32 s48, v7                                // 000000002D84: 7E600507
	s_nop 3                                                    // 000000002D88: BF800003
	s_mul_i32 s62, s50, s48                                    // 000000002D8C: 923E3032
	s_sub_i32 s62, s49, s62                                    // 000000002D90: 81BE3E31

0000000000002d94 <label_0065>:
	s_add_i32 s47, s62, s47                                    // 000000002D94: 812F2F3E
	s_lshr_b32 s37, s37, 1                                     // 000000002D98: 8F258125
	s_mul_i32 s62, s48, 0x80                                   // 000000002D9C: 923EFF30 00000080
	s_mul_hi_u32 s63, s37, s62                                 // 000000002DA4: 963F3E25
	s_add_u32 s13, s13, s63                                    // 000000002DA8: 800D3F0D
	s_mul_i32 s63, s37, s62                                    // 000000002DAC: 923F3E25
	s_add_u32 s12, s12, s63                                    // 000000002DB0: 800C3F0C
	s_addc_u32 s13, s13, 0                                     // 000000002DB4: 820D800D
	s_sub_i32 s63, s43, s62                                    // 000000002DB8: 81BF3E2B
	s_cmp_lt_u32 s63, 0x80                                     // 000000002DBC: BF0AFF3F 00000080
	s_cselect_b32 s62, s63, 0x80                               // 000000002DC4: 853EFF3F 00000080
	s_mul_i32 s14, s37, s62                                    // 000000002DCC: 920E3E25
	s_mov_b32 s15, 0x20000                                     // 000000002DD0: BE8F00FF 00020000
	v_lshrrev_b32_e32 v4, 3, v0                                // 000000002DD8: 20080083
	v_lshrrev_b32_e32 v5, 2, v4                                // 000000002DDC: 200A0882
	v_lshlrev_b32_e32 v5, 4, v5                                // 000000002DE0: 240A0A84
	v_and_b32_e32 v4, 3, v4                                    // 000000002DE4: 26080883
	v_lshrrev_b32_e32 v6, 1, v4                                // 000000002DE8: 200C0881
	v_lshlrev_b32_e32 v6, 2, v6                                // 000000002DEC: 240C0C82
	v_add_u32_e32 v5, v5, v6                                   // 000000002DF0: 680A0D05
	v_and_b32_e32 v4, 1, v4                                    // 000000002DF4: 26080881
	v_add_u32_e32 v5, v5, v4                                   // 000000002DF8: 680A0905
	v_mul_lo_u32 v144, s37, v5                                 // 000000002DFC: D2850090 00020A25
	v_and_b32_e32 v4, 7, v0                                    // 000000002E04: 26080087
	v_lshlrev_b32_e32 v4, 4, v4                                // 000000002E08: 24080884
	v_add_u32_e32 v144, v4, v144                               // 000000002E0C: 69212104
	s_lshr_b32 s62, s46, 1                                     // 000000002E10: 8F3E812E
	s_mul_i32 s62, s62, 8                                      // 000000002E14: 923E883E
	s_and_b32 s63, s46, 1                                      // 000000002E18: 863F812E
	s_mul_i32 s63, s63, 2                                      // 000000002E1C: 923F823F
	s_add_u32 s62, s62, s63                                    // 000000002E20: 803E3F3E
	s_mul_i32 s62, s37, s62                                    // 000000002E24: 923E3E25
	v_add_u32_e32 v144, s62, v144                              // 000000002E28: 6921203E
	s_mul_i32 s62, s37, 32                                     // 000000002E2C: 923EA025
	v_add_u32_e32 v145, s62, v144                              // 000000002E30: 6923203E
	v_add_u32_e32 v146, s62, v145                              // 000000002E34: 6925223E
	v_add_u32_e32 v147, s62, v146                              // 000000002E38: 6927243E
	s_mul_i32 s64, 0x420, s46                                  // 000000002E3C: 92402EFF 00000420
	s_add_u32 s64, 0x1000, s64                                 // 000000002E44: 804040FF 00001000
	v_and_b32_e32 v4, 15, v0                                   // 000000002E4C: 2608008F
	v_lshrrev_b32_e32 v5, 3, v4                                // 000000002E50: 200A0883
	v_mul_i32_i24_e32 v5, 2, v5                                // 000000002E54: 0C0A0A82
	v_and_b32_e32 v4, 3, v0                                    // 000000002E58: 26080083
	v_lshrrev_b32_e32 v6, 1, v4                                // 000000002E5C: 200C0881
	v_add_u32_e32 v4, v5, v6                                   // 000000002E60: 68080D05
	v_mul_i32_i24_e32 v148, 0x420, v4                          // 000000002E64: 0D2808FF 00000420
	v_and_b32_e32 v4, 7, v0                                    // 000000002E6C: 26080087
	v_lshrrev_b32_e32 v5, 2, v4                                // 000000002E70: 200A0882
	v_mul_i32_i24_e32 v5, 0x100, v5                            // 000000002E74: 0C0A0AFF 00000100
	v_add_u32_e32 v148, v5, v148                               // 000000002E7C: 69292905
	v_and_b32_e32 v4, 1, v0                                    // 000000002E80: 26080081
	v_mul_i32_i24_e32 v6, 0x80, v4                             // 000000002E84: 0C0C08FF 00000080
	v_add_u32_e32 v148, v6, v148                               // 000000002E8C: 69292906
	v_lshrrev_b32_e32 v4, 4, v0                                // 000000002E90: 20080084
	v_mul_i32_i24_e32 v4, 16, v4                               // 000000002E94: 0C080890
	v_add_u32_e32 v148, v4, v148                               // 000000002E98: 69292904
	v_add_u32_e32 v148, 0x1000, v148                           // 000000002E9C: 692928FF 00001000
	v_add_u32_e32 v149, 0x4200, v148                           // 000000002EA4: 692B28FF 00004200
	v_add_u32_e32 v150, 0x4200, v149                           // 000000002EAC: 692D2AFF 00004200
	v_add_u32_e32 v151, 0x4200, v150                           // 000000002EB4: 692F2CFF 00004200
	s_mul_i32 s62, s48, 0x80                                   // 000000002EBC: 923EFF30 00000080
	s_mul_hi_u32 s63, s39, s62                                 // 000000002EC4: 963F3E27
	s_add_u32 s21, s21, s63                                    // 000000002EC8: 80153F15
	s_mul_i32 s63, s39, s62                                    // 000000002ECC: 923F3E27
	s_add_u32 s20, s20, s63                                    // 000000002ED0: 80143F14
	s_addc_u32 s21, s21, 0                                     // 000000002ED4: 82158015
	s_add_u32 s63, s43, 31                                     // 000000002ED8: 803F9F2B
	s_lshr_b32 s63, s63, 5                                     // 000000002EDC: 8F3F853F
	s_lshl_b32 s63, s63, 5                                     // 000000002EE0: 8E3F853F
	s_sub_i32 s63, s63, s62                                    // 000000002EE4: 81BF3E3F
	s_cmp_lt_u32 s63, 0x80                                     // 000000002EE8: BF0AFF3F 00000080
	s_cselect_b32 s62, s63, 0x80                               // 000000002EF0: 853EFF3F 00000080
	s_mul_i32 s22, s39, s62                                    // 000000002EF8: 92163E27
	s_mov_b32 s23, 0x20000                                     // 000000002EFC: BE9700FF 00020000
	v_lshlrev_b32_e32 v152, 2, v0                              // 000000002F04: 25300082
	s_mul_i32 s63, s46, 32                                     // 000000002F08: 923FA02E
	s_mul_i32 s63, s63, s39                                    // 000000002F0C: 923F273F
	v_add_u32_e32 v152, s63, v152                              // 000000002F10: 6931303F
	s_mul_i32 s65, s46, 0x100                                  // 000000002F14: 9241FF2E 00000100
	s_add_i32 s65, s65, 0                                      // 000000002F1C: 81418041
	v_lshlrev_b32_e32 v153, 2, v0                              // 000000002F20: 25320082
	v_add_u32_e32 v153, 0, v153                                // 000000002F24: 69333280
	s_lshr_b32 s38, s38, 1                                     // 000000002F28: 8F268126
	s_mul_i32 s62, s47, 0x100                                  // 000000002F2C: 923EFF2F 00000100
	s_mul_hi_u32 s63, s38, s62                                 // 000000002F34: 963F3E26
	s_add_u32 s17, s17, s63                                    // 000000002F38: 80113F11
	s_mul_i32 s63, s38, s62                                    // 000000002F3C: 923F3E26
	s_add_u32 s16, s16, s63                                    // 000000002F40: 80103F10
	s_addc_u32 s17, s17, 0                                     // 000000002F44: 82118011
	s_sub_i32 s63, s44, s62                                    // 000000002F48: 81BF3E2C
	s_cmp_lt_u32 s63, 0x100                                    // 000000002F4C: BF0AFF3F 00000100
	s_cselect_b32 s62, s63, 0x100                              // 000000002F54: 853EFF3F 00000100
	s_mul_i32 s18, s38, s62                                    // 000000002F5C: 92123E26
	s_mov_b32 s19, 0x20000                                     // 000000002F60: BE9300FF 00020000
	v_lshlrev_b32_e32 v154, 4, v0                              // 000000002F68: 25340084
	s_mul_i32 s63, s46, 64                                     // 000000002F6C: 923FC02E
	s_mul_i32 s62, s63, s38                                    // 000000002F70: 923E263F
	v_add_u32_e32 v154, s62, v154                              // 000000002F74: 6935343E
	s_mul_i32 s62, 16, s38                                     // 000000002F78: 923E2690
	v_add_u32_e32 v155, s62, v154                              // 000000002F7C: 6937343E
	v_add_u32_e32 v156, s62, v155                              // 000000002F80: 6939363E
	v_add_u32_e32 v157, s62, v156                              // 000000002F84: 693B383E
	s_mul_i32 s62, s47, 0x100                                  // 000000002F88: 923EFF2F 00000100
	s_mul_hi_u32 s63, s40, s62                                 // 000000002F90: 963F3E28
	s_add_u32 s25, s25, s63                                    // 000000002F94: 80193F19
	s_mul_i32 s63, s40, s62                                    // 000000002F98: 923F3E28
	s_add_u32 s24, s24, s63                                    // 000000002F9C: 80183F18
	s_addc_u32 s25, s25, 0                                     // 000000002FA0: 82198019
	s_sub_i32 s63, s44, s62                                    // 000000002FA4: 81BF3E2C
	s_cmp_lt_u32 s63, 0x100                                    // 000000002FA8: BF0AFF3F 00000100
	s_cselect_b32 s62, s63, 0x100                              // 000000002FB0: 853EFF3F 00000100
	s_mul_i32 s26, s40, s62                                    // 000000002FB8: 921A3E28
	s_mov_b32 s27, 0x20000                                     // 000000002FBC: BE9B00FF 00020000
	v_lshlrev_b32_e32 v158, 2, v0                              // 000000002FC4: 253C0082
	s_mul_i32 s63, s46, 64                                     // 000000002FC8: 923FC02E
	s_mul_i32 s63, s63, s40                                    // 000000002FCC: 923F283F
	v_add_u32_e32 v158, s63, v158                              // 000000002FD0: 693D3C3F
	s_mul_i32 s62, 32, s40                                     // 000000002FD4: 923E28A0
	v_add_u32_e32 v159, s62, v158                              // 000000002FD8: 693F3C3E
	s_mov_b32 s66, 0x80                                        // 000000002FDC: BEC200FF 00000080
	s_mov_b32 s67, 0x800                                       // 000000002FE4: BEC300FF 00000800
	s_mov_b32 s68, 0x100                                       // 000000002FEC: BEC400FF 00000100
	s_mov_b32 s69, 0x100                                       // 000000002FF4: BEC500FF 00000100
	s_mov_b32 s60, 0                                           // 000000002FFC: BEBC0080
	s_mov_b32 s61, s45                                         // 000000003000: BEBD002D
	s_add_u32 m0, 0, s65                                       // 000000003004: 807C4180
	buffer_load_dword v152, s[20:23], 0 offen lds              // 000000003008: E0511000 80050098
	v_accvgpr_write_b32 a0, 0                                  // 000000003010: D3D94000 18000080
	v_accvgpr_write_b32 a1, 0                                  // 000000003018: D3D94001 18000080
	v_accvgpr_write_b32 a2, 0                                  // 000000003020: D3D94002 18000080
	v_accvgpr_write_b32 a3, 0                                  // 000000003028: D3D94003 18000080
	v_accvgpr_write_b32 a4, 0                                  // 000000003030: D3D94004 18000080
	v_accvgpr_write_b32 a5, 0                                  // 000000003038: D3D94005 18000080
	s_add_u32 m0, 0, s64                                       // 000000003040: 807C4080
	buffer_load_dwordx4 v144, s[12:15], 0 offen lds            // 000000003044: E05D1000 80030090
	v_accvgpr_write_b32 a6, 0                                  // 00000000304C: D3D94006 18000080
	v_accvgpr_write_b32 a7, 0                                  // 000000003054: D3D94007 18000080
	v_accvgpr_write_b32 a8, 0                                  // 00000000305C: D3D94008 18000080
	v_accvgpr_write_b32 a9, 0                                  // 000000003064: D3D94009 18000080
	v_accvgpr_write_b32 a10, 0                                 // 00000000306C: D3D9400A 18000080
	v_accvgpr_write_b32 a11, 0                                 // 000000003074: D3D9400B 18000080
	s_add_u32 m0, 0x1080, s64                                  // 00000000307C: 807C40FF 00001080
	buffer_load_dwordx4 v145, s[12:15], 0 offen lds            // 000000003084: E05D1000 80030091
	v_accvgpr_write_b32 a12, 0                                 // 00000000308C: D3D9400C 18000080
	v_accvgpr_write_b32 a13, 0                                 // 000000003094: D3D9400D 18000080
	v_accvgpr_write_b32 a14, 0                                 // 00000000309C: D3D9400E 18000080
	v_accvgpr_write_b32 a15, 0                                 // 0000000030A4: D3D9400F 18000080
	v_accvgpr_write_b32 a16, 0                                 // 0000000030AC: D3D94010 18000080
	v_accvgpr_write_b32 a17, 0                                 // 0000000030B4: D3D94011 18000080
	s_add_u32 m0, 0x2100, s64                                  // 0000000030BC: 807C40FF 00002100
	buffer_load_dwordx4 v146, s[12:15], 0 offen lds            // 0000000030C4: E05D1000 80030092
	v_accvgpr_write_b32 a18, 0                                 // 0000000030CC: D3D94012 18000080
	v_accvgpr_write_b32 a19, 0                                 // 0000000030D4: D3D94013 18000080
	v_accvgpr_write_b32 a20, 0                                 // 0000000030DC: D3D94014 18000080
	v_accvgpr_write_b32 a21, 0                                 // 0000000030E4: D3D94015 18000080
	v_accvgpr_write_b32 a22, 0                                 // 0000000030EC: D3D94016 18000080
	v_accvgpr_write_b32 a23, 0                                 // 0000000030F4: D3D94017 18000080
	s_add_u32 m0, 0x3180, s64                                  // 0000000030FC: 807C40FF 00003180
	buffer_load_dwordx4 v147, s[12:15], 0 offen lds            // 000000003104: E05D1000 80030093
	v_accvgpr_write_b32 a24, 0                                 // 00000000310C: D3D94018 18000080
	v_accvgpr_write_b32 a25, 0                                 // 000000003114: D3D94019 18000080
	v_accvgpr_write_b32 a26, 0                                 // 00000000311C: D3D9401A 18000080
	v_accvgpr_write_b32 a27, 0                                 // 000000003124: D3D9401B 18000080
	v_accvgpr_write_b32 a28, 0                                 // 00000000312C: D3D9401C 18000080
	v_accvgpr_write_b32 a29, 0                                 // 000000003134: D3D9401D 18000080
	buffer_load_dwordx4 v[72:75], v154, s[16:19], 0 offen      // 00000000313C: E05C1000 8004489A
	v_accvgpr_write_b32 a30, 0                                 // 000000003144: D3D9401E 18000080
	v_accvgpr_write_b32 a31, 0                                 // 00000000314C: D3D9401F 18000080
	v_accvgpr_write_b32 a32, 0                                 // 000000003154: D3D94020 18000080
	v_accvgpr_write_b32 a33, 0                                 // 00000000315C: D3D94021 18000080
	v_accvgpr_write_b32 a34, 0                                 // 000000003164: D3D94022 18000080
	v_accvgpr_write_b32 a35, 0                                 // 00000000316C: D3D94023 18000080
	buffer_load_dwordx4 v[76:79], v155, s[16:19], 0 offen      // 000000003174: E05C1000 80044C9B
	v_accvgpr_write_b32 a36, 0                                 // 00000000317C: D3D94024 18000080
	v_accvgpr_write_b32 a37, 0                                 // 000000003184: D3D94025 18000080
	v_accvgpr_write_b32 a38, 0                                 // 00000000318C: D3D94026 18000080
	v_accvgpr_write_b32 a39, 0                                 // 000000003194: D3D94027 18000080
	v_accvgpr_write_b32 a40, 0                                 // 00000000319C: D3D94028 18000080
	v_accvgpr_write_b32 a41, 0                                 // 0000000031A4: D3D94029 18000080
	buffer_load_dwordx4 v[80:83], v154, s[16:19], 0 offen offset:1024// 0000000031AC: E05C1400 8004509A
	v_accvgpr_write_b32 a42, 0                                 // 0000000031B4: D3D9402A 18000080
	v_accvgpr_write_b32 a43, 0                                 // 0000000031BC: D3D9402B 18000080
	v_accvgpr_write_b32 a44, 0                                 // 0000000031C4: D3D9402C 18000080
	v_accvgpr_write_b32 a45, 0                                 // 0000000031CC: D3D9402D 18000080
	v_accvgpr_write_b32 a46, 0                                 // 0000000031D4: D3D9402E 18000080
	v_accvgpr_write_b32 a47, 0                                 // 0000000031DC: D3D9402F 18000080
	buffer_load_dwordx4 v[84:87], v155, s[16:19], 0 offen offset:1024// 0000000031E4: E05C1400 8004549B
	v_accvgpr_write_b32 a48, 0                                 // 0000000031EC: D3D94030 18000080
	v_accvgpr_write_b32 a49, 0                                 // 0000000031F4: D3D94031 18000080
	v_accvgpr_write_b32 a50, 0                                 // 0000000031FC: D3D94032 18000080
	v_accvgpr_write_b32 a51, 0                                 // 000000003204: D3D94033 18000080
	v_accvgpr_write_b32 a52, 0                                 // 00000000320C: D3D94034 18000080
	v_accvgpr_write_b32 a53, 0                                 // 000000003214: D3D94035 18000080
	buffer_load_dword v140, v158, s[24:27], 0 offen            // 00000000321C: E0501000 80068C9E
	v_accvgpr_write_b32 a54, 0                                 // 000000003224: D3D94036 18000080
	v_accvgpr_write_b32 a55, 0                                 // 00000000322C: D3D94037 18000080
	v_accvgpr_write_b32 a56, 0                                 // 000000003234: D3D94038 18000080
	v_accvgpr_write_b32 a57, 0                                 // 00000000323C: D3D94039 18000080
	v_accvgpr_write_b32 a58, 0                                 // 000000003244: D3D9403A 18000080
	v_accvgpr_write_b32 a59, 0                                 // 00000000324C: D3D9403B 18000080
	s_add_u32 s62, 0x100, s60                                  // 000000003254: 803E3CFF 00000100
	s_cmp_lt_u32 s62, s61                                      // 00000000325C: BF0A3D3E
	s_cselect_b32 s66, s66, 0                                  // 000000003260: 85428042
	s_cselect_b32 s68, s68, 0                                  // 000000003264: 85448044
	s_add_u32 s12, s12, s66                                    // 000000003268: 800C420C
	s_addc_u32 s13, 0, s13                                     // 00000000326C: 820D0D80
	s_sub_u32 s14, s14, s66                                    // 000000003270: 808E420E
	s_add_u32 s20, s20, s68                                    // 000000003274: 80144414
	s_addc_u32 s21, 0, s21                                     // 000000003278: 82151580
	s_sub_u32 s22, s22, s68                                    // 00000000327C: 80964416
	buffer_load_dwordx4 v[88:91], v156, s[16:19], 0 offen      // 000000003280: E05C1000 8004589C
	v_accvgpr_write_b32 a60, 0                                 // 000000003288: D3D9403C 18000080
	v_accvgpr_write_b32 a61, 0                                 // 000000003290: D3D9403D 18000080
	v_accvgpr_write_b32 a62, 0                                 // 000000003298: D3D9403E 18000080
	v_accvgpr_write_b32 a63, 0                                 // 0000000032A0: D3D9403F 18000080
	v_accvgpr_write_b32 a64, 0                                 // 0000000032A8: D3D94040 18000080
	v_accvgpr_write_b32 a65, 0                                 // 0000000032B0: D3D94041 18000080
	buffer_load_dwordx4 v[92:95], v157, s[16:19], 0 offen      // 0000000032B8: E05C1000 80045C9D
	v_accvgpr_write_b32 a66, 0                                 // 0000000032C0: D3D94042 18000080
	v_accvgpr_write_b32 a67, 0                                 // 0000000032C8: D3D94043 18000080
	v_accvgpr_write_b32 a68, 0                                 // 0000000032D0: D3D94044 18000080
	v_accvgpr_write_b32 a69, 0                                 // 0000000032D8: D3D94045 18000080
	v_accvgpr_write_b32 a70, 0                                 // 0000000032E0: D3D94046 18000080
	v_accvgpr_write_b32 a71, 0                                 // 0000000032E8: D3D94047 18000080
	buffer_load_dwordx4 v[96:99], v156, s[16:19], 0 offen offset:1024// 0000000032F0: E05C1400 8004609C
	v_accvgpr_write_b32 a72, 0                                 // 0000000032F8: D3D94048 18000080
	v_accvgpr_write_b32 a73, 0                                 // 000000003300: D3D94049 18000080
	v_accvgpr_write_b32 a74, 0                                 // 000000003308: D3D9404A 18000080
	v_accvgpr_write_b32 a75, 0                                 // 000000003310: D3D9404B 18000080
	v_accvgpr_write_b32 a76, 0                                 // 000000003318: D3D9404C 18000080
	v_accvgpr_write_b32 a77, 0                                 // 000000003320: D3D9404D 18000080
	buffer_load_dwordx4 v[100:103], v157, s[16:19], 0 offen offset:1024// 000000003328: E05C1400 8004649D
	v_accvgpr_write_b32 a78, 0                                 // 000000003330: D3D9404E 18000080
	v_accvgpr_write_b32 a79, 0                                 // 000000003338: D3D9404F 18000080
	v_accvgpr_write_b32 a80, 0                                 // 000000003340: D3D94050 18000080
	v_accvgpr_write_b32 a81, 0                                 // 000000003348: D3D94051 18000080
	v_accvgpr_write_b32 a82, 0                                 // 000000003350: D3D94052 18000080
	v_accvgpr_write_b32 a83, 0                                 // 000000003358: D3D94053 18000080
	buffer_load_dword v141, v159, s[24:27], 0 offen            // 000000003360: E0501000 80068D9F
	v_accvgpr_write_b32 a84, 0                                 // 000000003368: D3D94054 18000080
	v_accvgpr_write_b32 a85, 0                                 // 000000003370: D3D94055 18000080
	v_accvgpr_write_b32 a86, 0                                 // 000000003378: D3D94056 18000080
	v_accvgpr_write_b32 a87, 0                                 // 000000003380: D3D94057 18000080
	v_accvgpr_write_b32 a88, 0                                 // 000000003388: D3D94058 18000080
	v_accvgpr_write_b32 a89, 0                                 // 000000003390: D3D94059 18000080
	s_add_u32 s63, 0x100, s60                                  // 000000003398: 803F3CFF 00000100
	s_cmp_lt_u32 s63, s61                                      // 0000000033A0: BF0A3D3F
	s_cselect_b32 s67, s67, 0                                  // 0000000033A4: 85438043
	s_cselect_b32 s69, s69, 0                                  // 0000000033A8: 85458045
	s_add_u32 s16, s16, s67                                    // 0000000033AC: 80104310
	s_addc_u32 s17, 0, s17                                     // 0000000033B0: 82111180
	s_sub_u32 s18, s18, s67                                    // 0000000033B4: 80924312
	s_add_u32 s24, s24, s69                                    // 0000000033B8: 80184518
	s_addc_u32 s25, 0, s25                                     // 0000000033BC: 82191980
	s_sub_u32 s26, s26, s69                                    // 0000000033C0: 809A451A
	s_add_u32 m0, 0x400, s65                                   // 0000000033C4: 807C41FF 00000400
	buffer_load_dword v152, s[20:23], 0 offen lds              // 0000000033CC: E0511000 80050098
	v_accvgpr_write_b32 a90, 0                                 // 0000000033D4: D3D9405A 18000080
	v_accvgpr_write_b32 a91, 0                                 // 0000000033DC: D3D9405B 18000080
	v_accvgpr_write_b32 a92, 0                                 // 0000000033E4: D3D9405C 18000080
	v_accvgpr_write_b32 a93, 0                                 // 0000000033EC: D3D9405D 18000080
	v_accvgpr_write_b32 a94, 0                                 // 0000000033F4: D3D9405E 18000080
	v_accvgpr_write_b32 a95, 0                                 // 0000000033FC: D3D9405F 18000080
	s_add_u32 m0, 0x4200, s64                                  // 000000003404: 807C40FF 00004200
	buffer_load_dwordx4 v144, s[12:15], 0 offen lds            // 00000000340C: E05D1000 80030090
	v_accvgpr_write_b32 a96, 0                                 // 000000003414: D3D94060 18000080
	v_accvgpr_write_b32 a97, 0                                 // 00000000341C: D3D94061 18000080
	v_accvgpr_write_b32 a98, 0                                 // 000000003424: D3D94062 18000080
	v_accvgpr_write_b32 a99, 0                                 // 00000000342C: D3D94063 18000080
	v_accvgpr_write_b32 a100, 0                                // 000000003434: D3D94064 18000080
	v_accvgpr_write_b32 a101, 0                                // 00000000343C: D3D94065 18000080
	s_add_u32 m0, 0x5280, s64                                  // 000000003444: 807C40FF 00005280
	buffer_load_dwordx4 v145, s[12:15], 0 offen lds            // 00000000344C: E05D1000 80030091
	v_accvgpr_write_b32 a102, 0                                // 000000003454: D3D94066 18000080
	v_accvgpr_write_b32 a103, 0                                // 00000000345C: D3D94067 18000080
	v_accvgpr_write_b32 a104, 0                                // 000000003464: D3D94068 18000080
	v_accvgpr_write_b32 a105, 0                                // 00000000346C: D3D94069 18000080
	v_accvgpr_write_b32 a106, 0                                // 000000003474: D3D9406A 18000080
	v_accvgpr_write_b32 a107, 0                                // 00000000347C: D3D9406B 18000080
	s_add_u32 m0, 0x6300, s64                                  // 000000003484: 807C40FF 00006300
	buffer_load_dwordx4 v146, s[12:15], 0 offen lds            // 00000000348C: E05D1000 80030092
	v_accvgpr_write_b32 a108, 0                                // 000000003494: D3D9406C 18000080
	v_accvgpr_write_b32 a109, 0                                // 00000000349C: D3D9406D 18000080
	v_accvgpr_write_b32 a110, 0                                // 0000000034A4: D3D9406E 18000080
	v_accvgpr_write_b32 a111, 0                                // 0000000034AC: D3D9406F 18000080
	v_accvgpr_write_b32 a112, 0                                // 0000000034B4: D3D94070 18000080
	v_accvgpr_write_b32 a113, 0                                // 0000000034BC: D3D94071 18000080
	s_add_u32 m0, 0x7380, s64                                  // 0000000034C4: 807C40FF 00007380
	buffer_load_dwordx4 v147, s[12:15], 0 offen lds            // 0000000034CC: E05D1000 80030093
	v_accvgpr_write_b32 a114, 0                                // 0000000034D4: D3D94072 18000080
	v_accvgpr_write_b32 a115, 0                                // 0000000034DC: D3D94073 18000080
	v_accvgpr_write_b32 a116, 0                                // 0000000034E4: D3D94074 18000080
	v_accvgpr_write_b32 a117, 0                                // 0000000034EC: D3D94075 18000080
	v_accvgpr_write_b32 a118, 0                                // 0000000034F4: D3D94076 18000080
	v_accvgpr_write_b32 a119, 0                                // 0000000034FC: D3D94077 18000080
	buffer_load_dwordx4 v[104:107], v154, s[16:19], 0 offen    // 000000003504: E05C1000 8004689A
	v_accvgpr_write_b32 a120, 0                                // 00000000350C: D3D94078 18000080
	v_accvgpr_write_b32 a121, 0                                // 000000003514: D3D94079 18000080
	v_accvgpr_write_b32 a122, 0                                // 00000000351C: D3D9407A 18000080
	v_accvgpr_write_b32 a123, 0                                // 000000003524: D3D9407B 18000080
	v_accvgpr_write_b32 a124, 0                                // 00000000352C: D3D9407C 18000080
	v_accvgpr_write_b32 a125, 0                                // 000000003534: D3D9407D 18000080
	buffer_load_dwordx4 v[108:111], v155, s[16:19], 0 offen    // 00000000353C: E05C1000 80046C9B
	v_accvgpr_write_b32 a126, 0                                // 000000003544: D3D9407E 18000080
	v_accvgpr_write_b32 a127, 0                                // 00000000354C: D3D9407F 18000080
	buffer_load_dwordx4 v[112:115], v154, s[16:19], 0 offen offset:1024// 000000003554: E05C1400 8004709A
	buffer_load_dwordx4 v[116:119], v155, s[16:19], 0 offen offset:1024// 00000000355C: E05C1400 8004749B
	buffer_load_dword v142, v158, s[24:27], 0 offen            // 000000003564: E0501000 80068E9E
	s_add_u32 s62, 0x200, s60                                  // 00000000356C: 803E3CFF 00000200
	s_cmp_lt_u32 s62, s61                                      // 000000003574: BF0A3D3E
	s_cselect_b32 s66, s66, 0                                  // 000000003578: 85428042
	s_cselect_b32 s68, s68, 0                                  // 00000000357C: 85448044
	s_add_u32 s12, s12, s66                                    // 000000003580: 800C420C
	s_addc_u32 s13, 0, s13                                     // 000000003584: 820D0D80
	s_sub_u32 s14, s14, s66                                    // 000000003588: 808E420E
	s_add_u32 s20, s20, s68                                    // 00000000358C: 80144414
	s_addc_u32 s21, 0, s21                                     // 000000003590: 82151580
	s_sub_u32 s22, s22, s68                                    // 000000003594: 80964416
	s_waitcnt vmcnt(22)                                        // 000000003598: BF8C4F76
	s_barrier                                                  // 00000000359C: BF8A0000
	ds_read_b128 v[8:11], v148                                 // 0000000035A0: D9FE0000 08000094
	ds_read_b128 v[16:19], v148 offset:64                      // 0000000035A8: D9FE0040 10000094
	ds_read_b128 v[12:15], v148 offset:512                     // 0000000035B0: D9FE0200 0C000094
	ds_read_b128 v[20:23], v148 offset:576                     // 0000000035B8: D9FE0240 14000094
	ds_read_b32 v136, v153                                     // 0000000035C0: D86C0000 88000099
	ds_read_b128 v[24:27], v148 offset:4224                    // 0000000035C8: D9FE1080 18000094
	ds_read_b128 v[32:35], v148 offset:4288                    // 0000000035D0: D9FE10C0 20000094
	ds_read_b128 v[28:31], v148 offset:4736                    // 0000000035D8: D9FE1280 1C000094
	ds_read_b128 v[36:39], v148 offset:4800                    // 0000000035E0: D9FE12C0 24000094
	ds_read_b32 v137, v153 offset:256                          // 0000000035E8: D86C0100 89000099
	s_nop 0                                                    // 0000000035F0: BF800000
	s_nop 0                                                    // 0000000035F4: BF800000
	s_nop 0                                                    // 0000000035F8: BF800000
	s_nop 0                                                    // 0000000035FC: BF800000
	s_nop 0                                                    // 000000003600: BF800000
	s_lshl_b32 s36, s36, 1                                     // 000000003604: 8E248124
	s_mul_i32 s62, s48, 0x80                                   // 000000003608: 923EFF30 00000080
	s_mul_hi_u32 s63, s36, s62                                 // 000000003610: 963F3E24
	s_add_u32 s5, s5, s63                                      // 000000003614: 80053F05
	s_mul_i32 s63, s36, s62                                    // 000000003618: 923F3E24
	s_add_u32 s4, s4, s63                                      // 00000000361C: 80043F04
	s_addc_u32 s5, s5, 0                                       // 000000003620: 82058005
	s_mul_i32 s63, s47, 0x100                                  // 000000003624: 923FFF2F 00000100
	s_lshl_b32 s63, s63, 1                                     // 00000000362C: 8E3F813F
	s_add_u32 s4, s4, s63                                      // 000000003630: 80043F04
	s_addc_u32 s5, s5, 0                                       // 000000003634: 82058005
	s_sub_i32 s62, s43, s62                                    // 000000003638: 81BE3E2B
	s_cmp_lt_u32 s62, 0x80                                     // 00000000363C: BF0AFF3E 00000080
	s_cselect_b32 s62, s62, 0x80                               // 000000003644: 853EFF3E 00000080
	s_mul_i32 s62, s36, s62                                    // 00000000364C: 923E3E24
	s_sub_i32 s6, s62, s63                                     // 000000003650: 81863F3E
	s_mov_b32 s7, 0x20000                                      // 000000003654: BE8700FF 00020000
	s_mul_i32 s62, s46, 64                                     // 00000000365C: 923EC02E
	s_lshl_b32 s62, s62, 1                                     // 000000003660: 8E3E813E
	v_lshrrev_b32_e32 v4, 5, v0                                // 000000003664: 20080085
	v_mul_i32_i24_e32 v4, 16, v4                               // 000000003668: 0C080890
	v_lshrrev_b32_e32 v5, 4, v0                                // 00000000366C: 200A0084
	v_and_b32_e32 v5, 1, v5                                    // 000000003670: 260A0A81
	v_mul_i32_i24_e32 v5, 32, v5                               // 000000003674: 0C0A0AA0
	v_add_u32_e32 v4, v4, v5                                   // 000000003678: 68080B04
	v_and_b32_e32 v5, 15, v0                                   // 00000000367C: 260A008F
	v_mul_lo_u32 v160, s36, v5                                 // 000000003680: D28500A0 00020A24
	v_add_u32_e32 v160, s62, v160                              // 000000003688: 6941403E
	v_add_u32_e32 v160, v4, v160                               // 00000000368C: 69414104
	s_cmp_lt_i32 s46, 2                                        // 000000003690: BF04822E
	s_cbranch_scc0 label_0869                                  // 000000003694: BF8405C3

0000000000003698 <label_02A6>:
	s_waitcnt vmcnt(15) lgkmcnt(5)                             // 000000003698: BF8C057F
	s_barrier                                                  // 00000000369C: BF8A0000
	v_mfma_scale_f32_16x16x128_f8f6f4 a[0:3], v[72:75], v[8:11], a[0:3], v140, v136 op_sel_hi:[0,0,0] cbsz:4 blgp:4// 0000000036A0: D3AC6000 0003118C D3AD8C00 84021148
	s_add_u32 s63, 0x200, s60                                  // 0000000036B0: 803F3CFF 00000200
	ds_read_b128 v[40:43], v148 offset:8448                    // 0000000036B8: D9FE2100 28000094
	v_mfma_scale_f32_16x16x128_f8f6f4 a[4:7], v[72:75], v[12:15], a[4:7], v140, v136 op_sel_hi:[0,0,0] cbsz:4 blgp:4// 0000000036C0: D3AC7000 0003118C D3AD8C04 84121948
	s_cmp_lt_u32 s63, s61                                      // 0000000036D0: BF0A3D3F
	buffer_load_dwordx4 v[120:123], v156, s[16:19], 0 offen    // 0000000036D4: E05C1000 8004789C
	v_mfma_scale_f32_16x16x128_f8f6f4 a[8:11], v[76:79], v[8:11], a[8:11], v140, v136 op_sel_hi:[0,0,0] cbsz:4 blgp:4// 0000000036DC: D3AC6800 0003118C D3AD8C08 8422114C
	s_cselect_b32 s67, s67, 0                                  // 0000000036EC: 85438043
	ds_read_b128 v[48:51], v148 offset:8512                    // 0000000036F0: D9FE2140 30000094
	v_mfma_scale_f32_16x16x128_f8f6f4 a[12:15], v[76:79], v[12:15], a[12:15], v140, v136 op_sel_hi:[0,0,0] cbsz:4 blgp:4// 0000000036F8: D3AC7800 0003118C D3AD8C0C 8432194C
	s_cselect_b32 s69, s69, 0                                  // 000000003708: 85458045
	v_mfma_scale_f32_16x16x128_f8f6f4 a[0:3], v[80:83], v[16:19], a[0:3], v140, v136 op_sel_hi:[0,0,0] cbsz:4 blgp:4// 00000000370C: D3AC6000 1803118C D3AD8C00 84022150
	ds_read_b128 v[44:47], v148 offset:8960                    // 00000000371C: D9FE2300 2C000094
	v_mfma_scale_f32_16x16x128_f8f6f4 a[4:7], v[80:83], v[20:23], a[4:7], v140, v136 op_sel_hi:[0,0,0] cbsz:4 blgp:4// 000000003724: D3AC7000 1803118C D3AD8C04 84122950
	buffer_load_dwordx4 v[124:127], v157, s[16:19], 0 offen    // 000000003734: E05C1000 80047C9D
	v_mfma_scale_f32_16x16x128_f8f6f4 a[8:11], v[84:87], v[16:19], a[8:11], v140, v136 op_sel_hi:[0,0,0] cbsz:4 blgp:4// 00000000373C: D3AC6800 1803118C D3AD8C08 84222154
	ds_read_b128 v[52:55], v148 offset:9024                    // 00000000374C: D9FE2340 34000094
	v_mfma_scale_f32_16x16x128_f8f6f4 a[12:15], v[84:87], v[20:23], a[12:15], v140, v136 op_sel_hi:[0,0,0] cbsz:4 blgp:4// 000000003754: D3AC7800 1803118C D3AD8C0C 84322954
	ds_read_b32 v138, v153 offset:512                          // 000000003764: D86C0200 8A000099
	s_waitcnt lgkmcnt(5)                                       // 00000000376C: BF8CC57F
	v_mfma_scale_f32_16x16x128_f8f6f4 a[32:35], v[72:75], v[24:27], a[32:35], v140, v137 op_sel_hi:[0,0,0] cbsz:4 blgp:4// 000000003770: D3AC6000 0003138C D3AD8C20 84823148
	ds_read_b128 v[56:59], v148 offset:12672                   // 000000003780: D9FE3180 38000094
	v_mfma_scale_f32_16x16x128_f8f6f4 a[36:39], v[72:75], v[28:31], a[36:39], v140, v137 op_sel_hi:[0,0,0] cbsz:4 blgp:4// 000000003788: D3AC7000 0003138C D3AD8C24 84923948
	buffer_load_dwordx4 v[128:131], v156, s[16:19], 0 offen offset:1024// 000000003798: E05C1400 8004809C
	v_mfma_scale_f32_16x16x128_f8f6f4 a[40:43], v[76:79], v[24:27], a[40:43], v140, v137 op_sel_hi:[0,0,0] cbsz:4 blgp:4// 0000000037A0: D3AC6800 0003138C D3AD8C28 84A2314C
	ds_read_b128 v[64:67], v148 offset:12736                   // 0000000037B0: D9FE31C0 40000094
	v_mfma_scale_f32_16x16x128_f8f6f4 a[44:47], v[76:79], v[28:31], a[44:47], v140, v137 op_sel_hi:[0,0,0] cbsz:4 blgp:4// 0000000037B8: D3AC7800 0003138C D3AD8C2C 84B2394C
	v_mfma_scale_f32_16x16x128_f8f6f4 a[32:35], v[80:83], v[32:35], a[32:35], v140, v137 op_sel_hi:[0,0,0] cbsz:4 blgp:4// 0000000037C8: D3AC6000 1803138C D3AD8C20 84824150
	ds_read_b128 v[60:63], v148 offset:13184                   // 0000000037D8: D9FE3380 3C000094
	v_mfma_scale_f32_16x16x128_f8f6f4 a[36:39], v[80:83], v[36:39], a[36:39], v140, v137 op_sel_hi:[0,0,0] cbsz:4 blgp:4// 0000000037E0: D3AC7000 1803138C D3AD8C24 84924950
	buffer_load_dwordx4 v[132:135], v157, s[16:19], 0 offen offset:1024// 0000000037F0: E05C1400 8004849D
	v_mfma_scale_f32_16x16x128_f8f6f4 a[40:43], v[84:87], v[32:35], a[40:43], v140, v137 op_sel_hi:[0,0,0] cbsz:4 blgp:4// 0000000037F8: D3AC6800 1803138C D3AD8C28 84A24154
	ds_read_b128 v[68:71], v148 offset:13248                   // 000000003808: D9FE33C0 44000094
	v_mfma_scale_f32_16x16x128_f8f6f4 a[44:47], v[84:87], v[36:39], a[44:47], v140, v137 op_sel_hi:[0,0,0] cbsz:4 blgp:4// 000000003810: D3AC7800 1803138C D3AD8C2C 84B24954
	ds_read_b32 v139, v153 offset:768                          // 000000003820: D86C0300 8B000099
	s_waitcnt lgkmcnt(5)                                       // 000000003828: BF8CC57F
	v_mfma_scale_f32_16x16x128_f8f6f4 a[64:67], v[72:75], v[40:43], a[64:67], v140, v138 op_sel_hi:[0,0,0] cbsz:4 blgp:4// 00000000382C: D3AC6000 0003158C D3AD8C40 85025148
	v_mfma_scale_f32_16x16x128_f8f6f4 a[68:71], v[72:75], v[44:47], a[68:71], v140, v138 op_sel_hi:[0,0,0] cbsz:4 blgp:4// 00000000383C: D3AC3000 0003158C D3AD8C44 85125948
	buffer_load_dword v143, v159, s[24:27], 0 offen            // 00000000384C: E0501000 80068F9F
	v_mfma_scale_f32_16x16x128_f8f6f4 a[72:75], v[76:79], v[40:43], a[72:75], v140, v138 op_sel_hi:[0,0,0] cbsz:4 blgp:4// 000000003854: D3AC6800 0003158C D3AD8C48 8522514C
	s_add_u32 s16, s16, s67                                    // 000000003864: 80104310
	s_addc_u32 s17, 0, s17                                     // 000000003868: 82111180
	v_mfma_scale_f32_16x16x128_f8f6f4 a[76:79], v[76:79], v[44:47], a[76:79], v140, v138 op_sel_hi:[0,0,0] cbsz:4 blgp:4// 00000000386C: D3AC7800 0003158C D3AD8C4C 8532594C
	s_sub_u32 s18, s18, s67                                    // 00000000387C: 80924312
	s_add_u32 s24, s24, s69                                    // 000000003880: 80184518
	v_mfma_scale_f32_16x16x128_f8f6f4 a[64:67], v[80:83], v[48:51], a[64:67], v140, v138 op_sel_hi:[0,0,0] cbsz:4 blgp:4// 000000003884: D3AC6000 1803158C D3AD8C40 85026150
	s_addc_u32 s25, 0, s25                                     // 000000003894: 82191980
	s_sub_u32 s26, s26, s69                                    // 000000003898: 809A451A
	v_mfma_scale_f32_16x16x128_f8f6f4 a[68:71], v[80:83], v[52:55], a[68:71], v140, v138 op_sel_hi:[0,0,0] cbsz:4 blgp:4// 00000000389C: D3AC7000 1803158C D3AD8C44 85126950
	s_add_u32 m0, 0x800, s65                                   // 0000000038AC: 807C41FF 00000800
	buffer_load_dword v152, s[20:23], 0 offen lds              // 0000000038B4: E0511000 80050098
	v_mfma_scale_f32_16x16x128_f8f6f4 a[72:75], v[84:87], v[48:51], a[72:75], v140, v138 op_sel_hi:[0,0,0] cbsz:4 blgp:4// 0000000038BC: D3AC6800 1803158C D3AD8C48 85226154
	v_mfma_scale_f32_16x16x128_f8f6f4 a[76:79], v[84:87], v[52:55], a[76:79], v140, v138 op_sel_hi:[0,0,0] cbsz:4 blgp:4// 0000000038CC: D3AC7800 1803158C D3AD8C4C 85326954
	s_waitcnt lgkmcnt(0)                                       // 0000000038DC: BF8CC07F
	v_mfma_scale_f32_16x16x128_f8f6f4 a[96:99], v[72:75], v[56:59], a[96:99], v140, v139 op_sel_hi:[0,0,0] cbsz:4 blgp:4// 0000000038E0: D3AC6000 0003178C D3AD8C60 85827148
	v_mfma_scale_f32_16x16x128_f8f6f4 a[100:103], v[72:75], v[60:63], a[100:103], v140, v139 op_sel_hi:[0,0,0] cbsz:4 blgp:4// 0000000038F0: D3AC7000 0003178C D3AD8C64 85927948
	s_add_u32 m0, 0x8400, s64                                  // 000000003900: 807C40FF 00008400
	buffer_load_dwordx4 v144, s[12:15], 0 offen lds            // 000000003908: E05D1000 80030090
	v_mfma_scale_f32_16x16x128_f8f6f4 a[104:107], v[76:79], v[56:59], a[104:107], v140, v139 op_sel_hi:[0,0,0] cbsz:4 blgp:4// 000000003910: D3AC6800 0003178C D3AD8C68 85A2714C
	v_mfma_scale_f32_16x16x128_f8f6f4 a[108:111], v[76:79], v[60:63], a[108:111], v140, v139 op_sel_hi:[0,0,0] cbsz:4 blgp:4// 000000003920: D3AC7800 0003178C D3AD8C6C 85B2794C
	v_mfma_scale_f32_16x16x128_f8f6f4 a[96:99], v[80:83], v[64:67], a[96:99], v140, v139 op_sel_hi:[0,0,0] cbsz:4 blgp:4// 000000003930: D3AC6000 1803178C D3AD8C60 85828150
	v_mfma_scale_f32_16x16x128_f8f6f4 a[100:103], v[80:83], v[68:71], a[100:103], v140, v139 op_sel_hi:[0,0,0] cbsz:4 blgp:4// 000000003940: D3AC7000 1803178C D3AD8C64 85928950
	v_mfma_scale_f32_16x16x128_f8f6f4 a[104:107], v[84:87], v[64:67], a[104:107], v140, v139 op_sel_hi:[0,0,0] cbsz:4 blgp:4// 000000003950: D3AC6800 1803178C D3AD8C68 85A28154
	v_mfma_scale_f32_16x16x128_f8f6f4 a[108:111], v[84:87], v[68:71], a[108:111], v140, v139 op_sel_hi:[0,0,0] cbsz:4 blgp:4// 000000003960: D3AC7800 1803178C D3AD8C6C 85B28954
	s_waitcnt vmcnt(17)                                        // 000000003970: BF8C4F71
	v_mfma_scale_f32_16x16x128_f8f6f4 a[16:19], v[88:91], v[8:11], a[16:19], v141, v136 op_sel_hi:[0,0,0] cbsz:4 blgp:4// 000000003974: D3AC6000 0003118D D3AD8C10 84421158
	v_mfma_scale_f32_16x16x128_f8f6f4 a[20:23], v[88:91], v[12:15], a[20:23], v141, v136 op_sel_hi:[0,0,0] cbsz:4 blgp:4// 000000003984: D3AC7000 0003118D D3AD8C14 84521958
	s_add_u32 m0, 0x9480, s64                                  // 000000003994: 807C40FF 00009480
	buffer_load_dwordx4 v145, s[12:15], 0 offen lds            // 00000000399C: E05D1000 80030091
	v_mfma_scale_f32_16x16x128_f8f6f4 a[24:27], v[92:95], v[8:11], a[24:27], v141, v136 op_sel_hi:[0,0,0] cbsz:4 blgp:4// 0000000039A4: D3AC6800 0003118D D3AD8C18 8462115C
	v_mfma_scale_f32_16x16x128_f8f6f4 a[28:31], v[92:95], v[12:15], a[28:31], v141, v136 op_sel_hi:[0,0,0] cbsz:4 blgp:4// 0000000039B4: D3AC7800 0003118D D3AD8C1C 8472195C
	v_mfma_scale_f32_16x16x128_f8f6f4 a[16:19], v[96:99], v[16:19], a[16:19], v141, v136 op_sel_hi:[0,0,0] cbsz:4 blgp:4// 0000000039C4: D3AC6000 1803118D D3AD8C10 84422160
	v_mfma_scale_f32_16x16x128_f8f6f4 a[20:23], v[96:99], v[20:23], a[20:23], v141, v136 op_sel_hi:[0,0,0] cbsz:4 blgp:4// 0000000039D4: D3AC7000 1803118D D3AD8C14 84522960
	s_add_u32 m0, 0xa500, s64                                  // 0000000039E4: 807C40FF 0000A500
	buffer_load_dwordx4 v146, s[12:15], 0 offen lds            // 0000000039EC: E05D1000 80030092
	v_mfma_scale_f32_16x16x128_f8f6f4 a[24:27], v[100:103], v[16:19], a[24:27], v141, v136 op_sel_hi:[0,0,0] cbsz:4 blgp:4// 0000000039F4: D3AC6800 1803118D D3AD8C18 84622164
	v_mfma_scale_f32_16x16x128_f8f6f4 a[28:31], v[100:103], v[20:23], a[28:31], v141, v136 op_sel_hi:[0,0,0] cbsz:4 blgp:4// 000000003A04: D3AC7800 1803118D D3AD8C1C 84722964
	v_mfma_scale_f32_16x16x128_f8f6f4 a[48:51], v[88:91], v[24:27], a[48:51], v141, v137 op_sel_hi:[0,0,0] cbsz:4 blgp:4// 000000003A14: D3AC6000 0003138D D3AD8C30 84C23158
	v_mfma_scale_f32_16x16x128_f8f6f4 a[52:55], v[88:91], v[28:31], a[52:55], v141, v137 op_sel_hi:[0,0,0] cbsz:4 blgp:4// 000000003A24: D3AC7000 0003138D D3AD8C34 84D23958
	s_add_u32 m0, 0xb580, s64                                  // 000000003A34: 807C40FF 0000B580
	buffer_load_dwordx4 v147, s[12:15], 0 offen lds            // 000000003A3C: E05D1000 80030093
	v_mfma_scale_f32_16x16x128_f8f6f4 a[56:59], v[92:95], v[24:27], a[56:59], v141, v137 op_sel_hi:[0,0,0] cbsz:4 blgp:4// 000000003A44: D3AC6800 0003138D D3AD8C38 84E2315C
	s_add_u32 s62, 0x300, s60                                  // 000000003A54: 803E3CFF 00000300
	s_cmp_lt_u32 s62, s61                                      // 000000003A5C: BF0A3D3E
	v_mfma_scale_f32_16x16x128_f8f6f4 a[60:63], v[92:95], v[28:31], a[60:63], v141, v137 op_sel_hi:[0,0,0] cbsz:4 blgp:4// 000000003A60: D3AC7800 0003138D D3AD8C3C 84F2395C
	s_cselect_b32 s66, s66, 0                                  // 000000003A70: 85428042
	s_cselect_b32 s68, s68, 0                                  // 000000003A74: 85448044
	v_mfma_scale_f32_16x16x128_f8f6f4 a[48:51], v[96:99], v[32:35], a[48:51], v141, v137 op_sel_hi:[0,0,0] cbsz:4 blgp:4// 000000003A78: D3AC6000 1803138D D3AD8C30 84C24160
	s_add_u32 s12, s12, s66                                    // 000000003A88: 800C420C
	s_addc_u32 s13, 0, s13                                     // 000000003A8C: 820D0D80
	v_mfma_scale_f32_16x16x128_f8f6f4 a[52:55], v[96:99], v[36:39], a[52:55], v141, v137 op_sel_hi:[0,0,0] cbsz:4 blgp:4// 000000003A90: D3AC7000 1803138D D3AD8C34 84D24960
	s_sub_u32 s14, s14, s66                                    // 000000003AA0: 808E420E
	buffer_load_dwordx4 v[72:75], v154, s[16:19], 0 offen      // 000000003AA4: E05C1000 8004489A
	v_mfma_scale_f32_16x16x128_f8f6f4 a[56:59], v[100:103], v[32:35], a[56:59], v141, v137 op_sel_hi:[0,0,0] cbsz:4 blgp:4// 000000003AAC: D3AC6800 1803138D D3AD8C38 84E24164
	s_add_u32 s20, s20, s68                                    // 000000003ABC: 80144414
	s_addc_u32 s21, 0, s21                                     // 000000003AC0: 82151580
	v_mfma_scale_f32_16x16x128_f8f6f4 a[60:63], v[100:103], v[36:39], a[60:63], v141, v137 op_sel_hi:[0,0,0] cbsz:4 blgp:4// 000000003AC4: D3AC7800 1803138D D3AD8C3C 84F24964
	s_sub_u32 s22, s22, s68                                    // 000000003AD4: 80964416
	s_addk_i32 s60, 0x100                                      // 000000003AD8: B73C0100
	s_waitcnt vmcnt(18)                                        // 000000003ADC: BF8C4F72
	s_barrier                                                  // 000000003AE0: BF8A0000
	v_mfma_scale_f32_16x16x128_f8f6f4 a[80:83], v[88:91], v[40:43], a[80:83], v141, v138 op_sel_hi:[0,0,0] cbsz:4 blgp:4// 000000003AE4: D3AC6000 0003158D D3AD8C50 85425158
	s_cmp_lt_i32 s60, s61                                      // 000000003AF4: BF043D3C
	ds_read_b128 v[8:11], v149                                 // 000000003AF8: D9FE0000 08000095
	v_mfma_scale_f32_16x16x128_f8f6f4 a[84:87], v[88:91], v[44:47], a[84:87], v141, v138 op_sel_hi:[0,0,0] cbsz:4 blgp:4// 000000003B00: D3AC7000 0003158D D3AD8C54 85525958
	buffer_load_dwordx4 v[76:79], v155, s[16:19], 0 offen      // 000000003B10: E05C1000 80044C9B
	v_mfma_scale_f32_16x16x128_f8f6f4 a[88:91], v[92:95], v[40:43], a[88:91], v141, v138 op_sel_hi:[0,0,0] cbsz:4 blgp:4// 000000003B18: D3AC6800 0003158D D3AD8C58 8562515C
	ds_read_b128 v[16:19], v149 offset:64                      // 000000003B28: D9FE0040 10000095
	v_mfma_scale_f32_16x16x128_f8f6f4 a[92:95], v[92:95], v[44:47], a[92:95], v141, v138 op_sel_hi:[0,0,0] cbsz:4 blgp:4// 000000003B30: D3AC7800 0003158D D3AD8C5C 8572595C
	v_mfma_scale_f32_16x16x128_f8f6f4 a[80:83], v[96:99], v[48:51], a[80:83], v141, v138 op_sel_hi:[0,0,0] cbsz:4 blgp:4// 000000003B40: D3AC6000 1803158D D3AD8C50 85426160
	ds_read_b128 v[12:15], v149 offset:512                     // 000000003B50: D9FE0200 0C000095
	v_mfma_scale_f32_16x16x128_f8f6f4 a[84:87], v[96:99], v[52:55], a[84:87], v141, v138 op_sel_hi:[0,0,0] cbsz:4 blgp:4// 000000003B58: D3AC7000 1803158D D3AD8C54 85526960
	buffer_load_dwordx4 v[80:83], v154, s[16:19], 0 offen offset:1024// 000000003B68: E05C1400 8004509A
	v_mfma_scale_f32_16x16x128_f8f6f4 a[88:91], v[100:103], v[48:51], a[88:91], v141, v138 op_sel_hi:[0,0,0] cbsz:4 blgp:4// 000000003B70: D3AC6800 1803158D D3AD8C58 85626164
	ds_read_b128 v[20:23], v149 offset:576                     // 000000003B80: D9FE0240 14000095
	v_mfma_scale_f32_16x16x128_f8f6f4 a[92:95], v[100:103], v[52:55], a[92:95], v141, v138 op_sel_hi:[0,0,0] cbsz:4 blgp:4// 000000003B88: D3AC7800 1803158D D3AD8C5C 85726964
	ds_read_b32 v136, v153 offset:1024                         // 000000003B98: D86C0400 88000099
	v_mfma_scale_f32_16x16x128_f8f6f4 a[112:115], v[88:91], v[56:59], a[112:115], v141, v139 op_sel_hi:[0,0,0] cbsz:4 blgp:4// 000000003BA0: D3AC6000 0003178D D3AD8C70 85C27158
	ds_read_b128 v[24:27], v149 offset:4224                    // 000000003BB0: D9FE1080 18000095
	v_mfma_scale_f32_16x16x128_f8f6f4 a[116:119], v[88:91], v[60:63], a[116:119], v141, v139 op_sel_hi:[0,0,0] cbsz:4 blgp:4// 000000003BB8: D3AC7000 0003178D D3AD8C74 85D27958
	buffer_load_dwordx4 v[84:87], v155, s[16:19], 0 offen offset:1024// 000000003BC8: E05C1400 8004549B
	v_mfma_scale_f32_16x16x128_f8f6f4 a[120:123], v[92:95], v[56:59], a[120:123], v141, v139 op_sel_hi:[0,0,0] cbsz:4 blgp:4// 000000003BD0: D3AC6800 0003178D D3AD8C78 85E2715C
	ds_read_b128 v[32:35], v149 offset:4288                    // 000000003BE0: D9FE10C0 20000095
	v_mfma_scale_f32_16x16x128_f8f6f4 a[124:127], v[92:95], v[60:63], a[124:127], v141, v139 op_sel_hi:[0,0,0] cbsz:4 blgp:4// 000000003BE8: D3AC7800 0003178D D3AD8C7C 85F2795C
	v_mfma_scale_f32_16x16x128_f8f6f4 a[112:115], v[96:99], v[64:67], a[112:115], v141, v139 op_sel_hi:[0,0,0] cbsz:4 blgp:4// 000000003BF8: D3AC6000 1803178D D3AD8C70 85C28160
	ds_read_b128 v[28:31], v149 offset:4736                    // 000000003C08: D9FE1280 1C000095
	v_mfma_scale_f32_16x16x128_f8f6f4 a[116:119], v[96:99], v[68:71], a[116:119], v141, v139 op_sel_hi:[0,0,0] cbsz:4 blgp:4// 000000003C10: D3AC7000 1803178D D3AD8C74 85D28960
	buffer_load_dword v140, v158, s[24:27], 0 offen            // 000000003C20: E0501000 80068C9E
	v_mfma_scale_f32_16x16x128_f8f6f4 a[120:123], v[100:103], v[64:67], a[120:123], v141, v139 op_sel_hi:[0,0,0] cbsz:4 blgp:4// 000000003C28: D3AC6800 1803178D D3AD8C78 85E28164
	ds_read_b128 v[36:39], v149 offset:4800                    // 000000003C38: D9FE12C0 24000095
	v_mfma_scale_f32_16x16x128_f8f6f4 a[124:127], v[100:103], v[68:71], a[124:127], v141, v139 op_sel_hi:[0,0,0] cbsz:4 blgp:4// 000000003C40: D3AC7800 1803178D D3AD8C7C 85F28964
	ds_read_b32 v137, v153 offset:1280                         // 000000003C50: D86C0500 89000099
	s_cbranch_scc0 label_0E2C                                  // 000000003C58: BF840A15
	s_waitcnt vmcnt(15) lgkmcnt(5)                             // 000000003C5C: BF8C057F
	s_barrier                                                  // 000000003C60: BF8A0000
	v_mfma_scale_f32_16x16x128_f8f6f4 a[0:3], v[104:107], v[8:11], a[0:3], v142, v136 op_sel_hi:[0,0,0] cbsz:4 blgp:4// 000000003C64: D3AC6000 0003118E D3AD8C00 84021168
	s_add_u32 s63, 0x200, s60                                  // 000000003C74: 803F3CFF 00000200
	ds_read_b128 v[40:43], v149 offset:8448                    // 000000003C7C: D9FE2100 28000095
	v_mfma_scale_f32_16x16x128_f8f6f4 a[4:7], v[104:107], v[12:15], a[4:7], v142, v136 op_sel_hi:[0,0,0] cbsz:4 blgp:4// 000000003C84: D3AC7000 0003118E D3AD8C04 84121968
	s_cmp_lt_u32 s63, s61                                      // 000000003C94: BF0A3D3F
	buffer_load_dwordx4 v[88:91], v156, s[16:19], 0 offen      // 000000003C98: E05C1000 8004589C
	v_mfma_scale_f32_16x16x128_f8f6f4 a[8:11], v[108:111], v[8:11], a[8:11], v142, v136 op_sel_hi:[0,0,0] cbsz:4 blgp:4// 000000003CA0: D3AC6800 0003118E D3AD8C08 8422116C
	s_cselect_b32 s67, s67, 0                                  // 000000003CB0: 85438043
	ds_read_b128 v[48:51], v149 offset:8512                    // 000000003CB4: D9FE2140 30000095
	v_mfma_scale_f32_16x16x128_f8f6f4 a[12:15], v[108:111], v[12:15], a[12:15], v142, v136 op_sel_hi:[0,0,0] cbsz:4 blgp:4// 000000003CBC: D3AC7800 0003118E D3AD8C0C 8432196C
	s_cselect_b32 s69, s69, 0                                  // 000000003CCC: 85458045
	v_mfma_scale_f32_16x16x128_f8f6f4 a[0:3], v[112:115], v[16:19], a[0:3], v142, v136 op_sel_hi:[0,0,0] cbsz:4 blgp:4// 000000003CD0: D3AC6000 1803118E D3AD8C00 84022170
	ds_read_b128 v[44:47], v149 offset:8960                    // 000000003CE0: D9FE2300 2C000095
	v_mfma_scale_f32_16x16x128_f8f6f4 a[4:7], v[112:115], v[20:23], a[4:7], v142, v136 op_sel_hi:[0,0,0] cbsz:4 blgp:4// 000000003CE8: D3AC7000 1803118E D3AD8C04 84122970
	buffer_load_dwordx4 v[92:95], v157, s[16:19], 0 offen      // 000000003CF8: E05C1000 80045C9D
	v_mfma_scale_f32_16x16x128_f8f6f4 a[8:11], v[116:119], v[16:19], a[8:11], v142, v136 op_sel_hi:[0,0,0] cbsz:4 blgp:4// 000000003D00: D3AC4800 1803118E D3AD8C08 84222174
	ds_read_b128 v[52:55], v149 offset:9024                    // 000000003D10: D9FE2340 34000095
	v_mfma_scale_f32_16x16x128_f8f6f4 a[12:15], v[116:119], v[20:23], a[12:15], v142, v136 op_sel_hi:[0,0,0] cbsz:4 blgp:4// 000000003D18: D3AC7800 1803118E D3AD8C0C 84322974
	ds_read_b32 v138, v153 offset:1536                         // 000000003D28: D86C0600 8A000099
	s_waitcnt lgkmcnt(5)                                       // 000000003D30: BF8CC57F
	v_mfma_scale_f32_16x16x128_f8f6f4 a[32:35], v[104:107], v[24:27], a[32:35], v142, v137 op_sel_hi:[0,0,0] cbsz:4 blgp:4// 000000003D34: D3AC6000 0003138E D3AD8C20 84823168
	ds_read_b128 v[56:59], v149 offset:12672                   // 000000003D44: D9FE3180 38000095
	v_mfma_scale_f32_16x16x128_f8f6f4 a[36:39], v[104:107], v[28:31], a[36:39], v142, v137 op_sel_hi:[0,0,0] cbsz:4 blgp:4// 000000003D4C: D3AC7000 0003138E D3AD8C24 84923968
	buffer_load_dwordx4 v[96:99], v156, s[16:19], 0 offen offset:1024// 000000003D5C: E05C1400 8004609C
	v_mfma_scale_f32_16x16x128_f8f6f4 a[40:43], v[108:111], v[24:27], a[40:43], v142, v137 op_sel_hi:[0,0,0] cbsz:4 blgp:4// 000000003D64: D3AC4800 0003138E D3AD8C28 84A2316C
	ds_read_b128 v[64:67], v149 offset:12736                   // 000000003D74: D9FE31C0 40000095
	v_mfma_scale_f32_16x16x128_f8f6f4 a[44:47], v[108:111], v[28:31], a[44:47], v142, v137 op_sel_hi:[0,0,0] cbsz:4 blgp:4// 000000003D7C: D3AC7800 0003138E D3AD8C2C 84B2396C
	v_mfma_scale_f32_16x16x128_f8f6f4 a[32:35], v[112:115], v[32:35], a[32:35], v142, v137 op_sel_hi:[0,0,0] cbsz:4 blgp:4// 000000003D8C: D3AC6000 1803138E D3AD8C20 84824170
	ds_read_b128 v[60:63], v149 offset:13184                   // 000000003D9C: D9FE3380 3C000095
	v_mfma_scale_f32_16x16x128_f8f6f4 a[36:39], v[112:115], v[36:39], a[36:39], v142, v137 op_sel_hi:[0,0,0] cbsz:4 blgp:4// 000000003DA4: D3AC7000 1803138E D3AD8C24 84924970
	buffer_load_dwordx4 v[100:103], v157, s[16:19], 0 offen offset:1024// 000000003DB4: E05C1400 8004649D
	v_mfma_scale_f32_16x16x128_f8f6f4 a[40:43], v[116:119], v[32:35], a[40:43], v142, v137 op_sel_hi:[0,0,0] cbsz:4 blgp:4// 000000003DBC: D3AC6800 1803138E D3AD8C28 84A24174
	ds_read_b128 v[68:71], v149 offset:13248                   // 000000003DCC: D9FE33C0 44000095
	v_mfma_scale_f32_16x16x128_f8f6f4 a[44:47], v[116:119], v[36:39], a[44:47], v142, v137 op_sel_hi:[0,0,0] cbsz:4 blgp:4// 000000003DD4: D3AC7800 1803138E D3AD8C2C 84B24974
	ds_read_b32 v139, v153 offset:1792                         // 000000003DE4: D86C0700 8B000099
	s_waitcnt lgkmcnt(5)                                       // 000000003DEC: BF8CC57F
	v_mfma_scale_f32_16x16x128_f8f6f4 a[64:67], v[104:107], v[40:43], a[64:67], v142, v138 op_sel_hi:[0,0,0] cbsz:4 blgp:4// 000000003DF0: D3AC6000 0003158E D3AD8C40 85025168
	v_mfma_scale_f32_16x16x128_f8f6f4 a[68:71], v[104:107], v[44:47], a[68:71], v142, v138 op_sel_hi:[0,0,0] cbsz:4 blgp:4// 000000003E00: D3AC5000 0003158E D3AD8C44 85125968
	buffer_load_dword v141, v159, s[24:27], 0 offen            // 000000003E10: E0501000 80068D9F
	v_mfma_scale_f32_16x16x128_f8f6f4 a[72:75], v[108:111], v[40:43], a[72:75], v142, v138 op_sel_hi:[0,0,0] cbsz:4 blgp:4// 000000003E18: D3AC6800 0003158E D3AD8C48 8522516C
	s_add_u32 s16, s16, s67                                    // 000000003E28: 80104310
	s_addc_u32 s17, 0, s17                                     // 000000003E2C: 82111180
	v_mfma_scale_f32_16x16x128_f8f6f4 a[76:79], v[108:111], v[44:47], a[76:79], v142, v138 op_sel_hi:[0,0,0] cbsz:4 blgp:4// 000000003E30: D3AC7800 0003158E D3AD8C4C 8532596C
	s_sub_u32 s18, s18, s67                                    // 000000003E40: 80924312
	s_add_u32 s24, s24, s69                                    // 000000003E44: 80184518
	v_mfma_scale_f32_16x16x128_f8f6f4 a[64:67], v[112:115], v[48:51], a[64:67], v142, v138 op_sel_hi:[0,0,0] cbsz:4 blgp:4// 000000003E48: D3AC6000 1803158E D3AD8C40 85026170
	s_addc_u32 s25, 0, s25                                     // 000000003E58: 82191980
	s_sub_u32 s26, s26, s69                                    // 000000003E5C: 809A451A
	v_mfma_scale_f32_16x16x128_f8f6f4 a[68:71], v[112:115], v[52:55], a[68:71], v142, v138 op_sel_hi:[0,0,0] cbsz:4 blgp:4// 000000003E60: D3AC5000 1803158E D3AD8C44 85126970
	s_add_u32 m0, 0xc00, s65                                   // 000000003E70: 807C41FF 00000C00
	buffer_load_dword v152, s[20:23], 0 offen lds              // 000000003E78: E0511000 80050098
	v_mfma_scale_f32_16x16x128_f8f6f4 a[72:75], v[116:119], v[48:51], a[72:75], v142, v138 op_sel_hi:[0,0,0] cbsz:4 blgp:4// 000000003E80: D3AC6800 1803158E D3AD8C48 85226174
	v_mfma_scale_f32_16x16x128_f8f6f4 a[76:79], v[116:119], v[52:55], a[76:79], v142, v138 op_sel_hi:[0,0,0] cbsz:4 blgp:4// 000000003E90: D3AC7800 1803158E D3AD8C4C 85326974
	s_waitcnt lgkmcnt(0)                                       // 000000003EA0: BF8CC07F
	v_mfma_scale_f32_16x16x128_f8f6f4 a[96:99], v[104:107], v[56:59], a[96:99], v142, v139 op_sel_hi:[0,0,0] cbsz:4 blgp:4// 000000003EA4: D3AC6000 0003178E D3AD8C60 85827168
	v_mfma_scale_f32_16x16x128_f8f6f4 a[100:103], v[104:107], v[60:63], a[100:103], v142, v139 op_sel_hi:[0,0,0] cbsz:4 blgp:4// 000000003EB4: D3AC7000 0003178E D3AD8C64 85927968
	s_add_u32 m0, 0xc600, s64                                  // 000000003EC4: 807C40FF 0000C600
	buffer_load_dwordx4 v144, s[12:15], 0 offen lds            // 000000003ECC: E05D1000 80030090
	v_mfma_scale_f32_16x16x128_f8f6f4 a[104:107], v[108:111], v[56:59], a[104:107], v142, v139 op_sel_hi:[0,0,0] cbsz:4 blgp:4// 000000003ED4: D3AC6800 0003178E D3AD8C68 85A2716C
	v_mfma_scale_f32_16x16x128_f8f6f4 a[108:111], v[108:111], v[60:63], a[108:111], v142, v139 op_sel_hi:[0,0,0] cbsz:4 blgp:4// 000000003EE4: D3AC7800 0003178E D3AD8C6C 85B2796C
	v_mfma_scale_f32_16x16x128_f8f6f4 a[96:99], v[112:115], v[64:67], a[96:99], v142, v139 op_sel_hi:[0,0,0] cbsz:4 blgp:4// 000000003EF4: D3AC6000 1803178E D3AD8C60 85828170
	v_mfma_scale_f32_16x16x128_f8f6f4 a[100:103], v[112:115], v[68:71], a[100:103], v142, v139 op_sel_hi:[0,0,0] cbsz:4 blgp:4// 000000003F04: D3AC3000 1803178E D3AD8C64 85928970
	v_mfma_scale_f32_16x16x128_f8f6f4 a[104:107], v[116:119], v[64:67], a[104:107], v142, v139 op_sel_hi:[0,0,0] cbsz:4 blgp:4// 000000003F14: D3AC6800 1803178E D3AD8C68 85A28174
	v_mfma_scale_f32_16x16x128_f8f6f4 a[108:111], v[116:119], v[68:71], a[108:111], v142, v139 op_sel_hi:[0,0,0] cbsz:4 blgp:4// 000000003F24: D3AC7800 1803178E D3AD8C6C 85B28974
	s_waitcnt vmcnt(17)                                        // 000000003F34: BF8C4F71
	v_mfma_scale_f32_16x16x128_f8f6f4 a[16:19], v[120:123], v[8:11], a[16:19], v143, v136 op_sel_hi:[0,0,0] cbsz:4 blgp:4// 000000003F38: D3AC6000 0003118F D3AD8C10 84421178
	v_mfma_scale_f32_16x16x128_f8f6f4 a[20:23], v[120:123], v[12:15], a[20:23], v143, v136 op_sel_hi:[0,0,0] cbsz:4 blgp:4// 000000003F48: D3AC7000 0003118F D3AD8C14 84521978
	s_add_u32 m0, 0xd680, s64                                  // 000000003F58: 807C40FF 0000D680
	buffer_load_dwordx4 v145, s[12:15], 0 offen lds            // 000000003F60: E05D1000 80030091
	v_mfma_scale_f32_16x16x128_f8f6f4 a[24:27], v[124:127], v[8:11], a[24:27], v143, v136 op_sel_hi:[0,0,0] cbsz:4 blgp:4// 000000003F68: D3AC6800 0003118F D3AD8C18 8462117C
	v_mfma_scale_f32_16x16x128_f8f6f4 a[28:31], v[124:127], v[12:15], a[28:31], v143, v136 op_sel_hi:[0,0,0] cbsz:4 blgp:4// 000000003F78: D3AC7800 0003118F D3AD8C1C 8472197C
	v_mfma_scale_f32_16x16x128_f8f6f4 a[16:19], v[128:131], v[16:19], a[16:19], v143, v136 op_sel_hi:[0,0,0] cbsz:4 blgp:4// 000000003F88: D3AC6000 1803118F D3AD8C10 84422180
	v_mfma_scale_f32_16x16x128_f8f6f4 a[20:23], v[128:131], v[20:23], a[20:23], v143, v136 op_sel_hi:[0,0,0] cbsz:4 blgp:4// 000000003F98: D3AC7000 1803118F D3AD8C14 84522980
	s_add_u32 m0, 0xe700, s64                                  // 000000003FA8: 807C40FF 0000E700
	buffer_load_dwordx4 v146, s[12:15], 0 offen lds            // 000000003FB0: E05D1000 80030092
	v_mfma_scale_f32_16x16x128_f8f6f4 a[24:27], v[132:135], v[16:19], a[24:27], v143, v136 op_sel_hi:[0,0,0] cbsz:4 blgp:4// 000000003FB8: D3AC6800 1803118F D3AD8C18 84622184
	v_mfma_scale_f32_16x16x128_f8f6f4 a[28:31], v[132:135], v[20:23], a[28:31], v143, v136 op_sel_hi:[0,0,0] cbsz:4 blgp:4// 000000003FC8: D3AC7800 1803118F D3AD8C1C 84722984
	v_mfma_scale_f32_16x16x128_f8f6f4 a[48:51], v[120:123], v[24:27], a[48:51], v143, v137 op_sel_hi:[0,0,0] cbsz:4 blgp:4// 000000003FD8: D3AC6000 0003138F D3AD8C30 84C23178
	v_mfma_scale_f32_16x16x128_f8f6f4 a[52:55], v[120:123], v[28:31], a[52:55], v143, v137 op_sel_hi:[0,0,0] cbsz:4 blgp:4// 000000003FE8: D3AC7000 0003138F D3AD8C34 84D23978
	s_add_u32 m0, 0xf780, s64                                  // 000000003FF8: 807C40FF 0000F780
	buffer_load_dwordx4 v147, s[12:15], 0 offen lds            // 000000004000: E05D1000 80030093
	v_mfma_scale_f32_16x16x128_f8f6f4 a[56:59], v[124:127], v[24:27], a[56:59], v143, v137 op_sel_hi:[0,0,0] cbsz:4 blgp:4// 000000004008: D3AC4800 0003138F D3AD8C38 84E2317C
	s_add_u32 s62, 0x300, s60                                  // 000000004018: 803E3CFF 00000300
	s_cmp_lt_u32 s62, s61                                      // 000000004020: BF0A3D3E
	v_mfma_scale_f32_16x16x128_f8f6f4 a[60:63], v[124:127], v[28:31], a[60:63], v143, v137 op_sel_hi:[0,0,0] cbsz:4 blgp:4// 000000004024: D3AC7800 0003138F D3AD8C3C 84F2397C
	s_cselect_b32 s66, s66, 0                                  // 000000004034: 85428042
	s_cselect_b32 s68, s68, 0                                  // 000000004038: 85448044
	v_mfma_scale_f32_16x16x128_f8f6f4 a[48:51], v[128:131], v[32:35], a[48:51], v143, v137 op_sel_hi:[0,0,0] cbsz:4 blgp:4// 00000000403C: D3AC6000 1803138F D3AD8C30 84C24180
	s_add_u32 s12, s12, s66                                    // 00000000404C: 800C420C
	s_addc_u32 s13, 0, s13                                     // 000000004050: 820D0D80
	v_mfma_scale_f32_16x16x128_f8f6f4 a[52:55], v[128:131], v[36:39], a[52:55], v143, v137 op_sel_hi:[0,0,0] cbsz:4 blgp:4// 000000004054: D3AC7000 1803138F D3AD8C34 84D24980
	s_sub_u32 s14, s14, s66                                    // 000000004064: 808E420E
	buffer_load_dwordx4 v[104:107], v154, s[16:19], 0 offen    // 000000004068: E05C1000 8004689A
	v_mfma_scale_f32_16x16x128_f8f6f4 a[56:59], v[132:135], v[32:35], a[56:59], v143, v137 op_sel_hi:[0,0,0] cbsz:4 blgp:4// 000000004070: D3AC6800 1803138F D3AD8C38 84E24184
	s_add_u32 s20, s20, s68                                    // 000000004080: 80144414
	s_addc_u32 s21, 0, s21                                     // 000000004084: 82151580
	v_mfma_scale_f32_16x16x128_f8f6f4 a[60:63], v[132:135], v[36:39], a[60:63], v143, v137 op_sel_hi:[0,0,0] cbsz:4 blgp:4// 000000004088: D3AC7800 1803138F D3AD8C3C 84F24984
	s_sub_u32 s22, s22, s68                                    // 000000004098: 80964416
	s_addk_i32 s60, 0x100                                      // 00000000409C: B73C0100
	s_waitcnt vmcnt(18)                                        // 0000000040A0: BF8C4F72
	s_barrier                                                  // 0000000040A4: BF8A0000
	v_mfma_scale_f32_16x16x128_f8f6f4 a[80:83], v[120:123], v[40:43], a[80:83], v143, v138 op_sel_hi:[0,0,0] cbsz:4 blgp:4// 0000000040A8: D3AC6000 0003158F D3AD8C50 85425178
	s_cmp_lt_i32 s60, s61                                      // 0000000040B8: BF043D3C
	ds_read_b128 v[8:11], v150                                 // 0000000040BC: D9FE0000 08000096
	v_mfma_scale_f32_16x16x128_f8f6f4 a[84:87], v[120:123], v[44:47], a[84:87], v143, v138 op_sel_hi:[0,0,0] cbsz:4 blgp:4// 0000000040C4: D3AC7000 0003158F D3AD8C54 85525978
	buffer_load_dwordx4 v[108:111], v155, s[16:19], 0 offen    // 0000000040D4: E05C1000 80046C9B
	v_mfma_scale_f32_16x16x128_f8f6f4 a[88:91], v[124:127], v[40:43], a[88:91], v143, v138 op_sel_hi:[0,0,0] cbsz:4 blgp:4// 0000000040DC: D3AC6800 0003158F D3AD8C58 8562517C
	ds_read_b128 v[16:19], v150 offset:64                      // 0000000040EC: D9FE0040 10000096
	v_mfma_scale_f32_16x16x128_f8f6f4 a[92:95], v[124:127], v[44:47], a[92:95], v143, v138 op_sel_hi:[0,0,0] cbsz:4 blgp:4// 0000000040F4: D3AC7800 0003158F D3AD8C5C 8572597C
	v_mfma_scale_f32_16x16x128_f8f6f4 a[80:83], v[128:131], v[48:51], a[80:83], v143, v138 op_sel_hi:[0,0,0] cbsz:4 blgp:4// 000000004104: D3AC6000 1803158F D3AD8C50 85426180
	ds_read_b128 v[12:15], v150 offset:512                     // 000000004114: D9FE0200 0C000096
	v_mfma_scale_f32_16x16x128_f8f6f4 a[84:87], v[128:131], v[52:55], a[84:87], v143, v138 op_sel_hi:[0,0,0] cbsz:4 blgp:4// 00000000411C: D3AC7000 1803158F D3AD8C54 85526980
	buffer_load_dwordx4 v[112:115], v154, s[16:19], 0 offen offset:1024// 00000000412C: E05C1400 8004709A
	v_mfma_scale_f32_16x16x128_f8f6f4 a[88:91], v[132:135], v[48:51], a[88:91], v143, v138 op_sel_hi:[0,0,0] cbsz:4 blgp:4// 000000004134: D3AC6800 1803158F D3AD8C58 85626184
	ds_read_b128 v[20:23], v150 offset:576                     // 000000004144: D9FE0240 14000096
	v_mfma_scale_f32_16x16x128_f8f6f4 a[92:95], v[132:135], v[52:55], a[92:95], v143, v138 op_sel_hi:[0,0,0] cbsz:4 blgp:4// 00000000414C: D3AC7800 1803158F D3AD8C5C 85726984
	ds_read_b32 v136, v153 offset:2048                         // 00000000415C: D86C0800 88000099
	v_mfma_scale_f32_16x16x128_f8f6f4 a[112:115], v[120:123], v[56:59], a[112:115], v143, v139 op_sel_hi:[0,0,0] cbsz:4 blgp:4// 000000004164: D3AC6000 0003178F D3AD8C70 85C27178
	ds_read_b128 v[24:27], v150 offset:4224                    // 000000004174: D9FE1080 18000096
	v_mfma_scale_f32_16x16x128_f8f6f4 a[116:119], v[120:123], v[60:63], a[116:119], v143, v139 op_sel_hi:[0,0,0] cbsz:4 blgp:4// 00000000417C: D3AC7000 0003178F D3AD8C74 85D27978
	buffer_load_dwordx4 v[116:119], v155, s[16:19], 0 offen offset:1024// 00000000418C: E05C1400 8004749B
	v_mfma_scale_f32_16x16x128_f8f6f4 a[120:123], v[124:127], v[56:59], a[120:123], v143, v139 op_sel_hi:[0,0,0] cbsz:4 blgp:4// 000000004194: D3AC6800 0003178F D3AD8C78 85E2717C
	ds_read_b128 v[32:35], v150 offset:4288                    // 0000000041A4: D9FE10C0 20000096
	v_mfma_scale_f32_16x16x128_f8f6f4 a[124:127], v[124:127], v[60:63], a[124:127], v143, v139 op_sel_hi:[0,0,0] cbsz:4 blgp:4// 0000000041AC: D3AC7800 0003178F D3AD8C7C 85F2797C
	v_mfma_scale_f32_16x16x128_f8f6f4 a[112:115], v[128:131], v[64:67], a[112:115], v143, v139 op_sel_hi:[0,0,0] cbsz:4 blgp:4// 0000000041BC: D3AC6000 1803178F D3AD8C70 85C28180
	ds_read_b128 v[28:31], v150 offset:4736                    // 0000000041CC: D9FE1280 1C000096
	v_mfma_scale_f32_16x16x128_f8f6f4 a[116:119], v[128:131], v[68:71], a[116:119], v143, v139 op_sel_hi:[0,0,0] cbsz:4 blgp:4// 0000000041D4: D3AC7000 1803178F D3AD8C74 85D28980
	buffer_load_dword v142, v158, s[24:27], 0 offen            // 0000000041E4: E0501000 80068E9E
	v_mfma_scale_f32_16x16x128_f8f6f4 a[120:123], v[132:135], v[64:67], a[120:123], v143, v139 op_sel_hi:[0,0,0] cbsz:4 blgp:4// 0000000041EC: D3AC6800 1803178F D3AD8C78 85E28184
	ds_read_b128 v[36:39], v150 offset:4800                    // 0000000041FC: D9FE12C0 24000096
	v_mfma_scale_f32_16x16x128_f8f6f4 a[124:127], v[132:135], v[68:71], a[124:127], v143, v139 op_sel_hi:[0,0,0] cbsz:4 blgp:4// 000000004204: D3AC7800 1803178F D3AD8C7C 85F28984
	ds_read_b32 v137, v153 offset:2304                         // 000000004214: D86C0900 89000099
	s_cbranch_scc0 label_0E2C                                  // 00000000421C: BF8408A4
	s_waitcnt vmcnt(15) lgkmcnt(5)                             // 000000004220: BF8C057F
	s_barrier                                                  // 000000004224: BF8A0000
	v_mfma_scale_f32_16x16x128_f8f6f4 a[0:3], v[72:75], v[8:11], a[0:3], v140, v136 op_sel_hi:[0,0,0] cbsz:4 blgp:4// 000000004228: D3AC6000 0003118C D3AD8C00 84021148
	s_add_u32 s63, 0x200, s60                                  // 000000004238: 803F3CFF 00000200
	ds_read_b128 v[40:43], v150 offset:8448                    // 000000004240: D9FE2100 28000096
	v_mfma_scale_f32_16x16x128_f8f6f4 a[4:7], v[72:75], v[12:15], a[4:7], v140, v136 op_sel_hi:[0,0,0] cbsz:4 blgp:4// 000000004248: D3AC7000 0003118C D3AD8C04 84121948
	s_cmp_lt_u32 s63, s61                                      // 000000004258: BF0A3D3F
	buffer_load_dwordx4 v[120:123], v156, s[16:19], 0 offen    // 00000000425C: E05C1000 8004789C
	v_mfma_scale_f32_16x16x128_f8f6f4 a[8:11], v[76:79], v[8:11], a[8:11], v140, v136 op_sel_hi:[0,0,0] cbsz:4 blgp:4// 000000004264: D3AC6800 0003118C D3AD8C08 8422114C
	s_cselect_b32 s67, s67, 0                                  // 000000004274: 85438043
	ds_read_b128 v[48:51], v150 offset:8512                    // 000000004278: D9FE2140 30000096
	v_mfma_scale_f32_16x16x128_f8f6f4 a[12:15], v[76:79], v[12:15], a[12:15], v140, v136 op_sel_hi:[0,0,0] cbsz:4 blgp:4// 000000004280: D3AC7800 0003118C D3AD8C0C 8432194C
	s_cselect_b32 s69, s69, 0                                  // 000000004290: 85458045
	v_mfma_scale_f32_16x16x128_f8f6f4 a[0:3], v[80:83], v[16:19], a[0:3], v140, v136 op_sel_hi:[0,0,0] cbsz:4 blgp:4// 000000004294: D3AC6000 1803118C D3AD8C00 84022150
	ds_read_b128 v[44:47], v150 offset:8960                    // 0000000042A4: D9FE2300 2C000096
	v_mfma_scale_f32_16x16x128_f8f6f4 a[4:7], v[80:83], v[20:23], a[4:7], v140, v136 op_sel_hi:[0,0,0] cbsz:4 blgp:4// 0000000042AC: D3AC7000 1803118C D3AD8C04 84122950
	buffer_load_dwordx4 v[124:127], v157, s[16:19], 0 offen    // 0000000042BC: E05C1000 80047C9D
	v_mfma_scale_f32_16x16x128_f8f6f4 a[8:11], v[84:87], v[16:19], a[8:11], v140, v136 op_sel_hi:[0,0,0] cbsz:4 blgp:4// 0000000042C4: D3AC6800 1803118C D3AD8C08 84222154
	ds_read_b128 v[52:55], v150 offset:9024                    // 0000000042D4: D9FE2340 34000096
	v_mfma_scale_f32_16x16x128_f8f6f4 a[12:15], v[84:87], v[20:23], a[12:15], v140, v136 op_sel_hi:[0,0,0] cbsz:4 blgp:4// 0000000042DC: D3AC7800 1803118C D3AD8C0C 84322954
	ds_read_b32 v138, v153 offset:2560                         // 0000000042EC: D86C0A00 8A000099
	s_waitcnt lgkmcnt(5)                                       // 0000000042F4: BF8CC57F
	v_mfma_scale_f32_16x16x128_f8f6f4 a[32:35], v[72:75], v[24:27], a[32:35], v140, v137 op_sel_hi:[0,0,0] cbsz:4 blgp:4// 0000000042F8: D3AC6000 0003138C D3AD8C20 84823148
	ds_read_b128 v[56:59], v150 offset:12672                   // 000000004308: D9FE3180 38000096
	v_mfma_scale_f32_16x16x128_f8f6f4 a[36:39], v[72:75], v[28:31], a[36:39], v140, v137 op_sel_hi:[0,0,0] cbsz:4 blgp:4// 000000004310: D3AC7000 0003138C D3AD8C24 84923948
	buffer_load_dwordx4 v[128:131], v156, s[16:19], 0 offen offset:1024// 000000004320: E05C1400 8004809C
	v_mfma_scale_f32_16x16x128_f8f6f4 a[40:43], v[76:79], v[24:27], a[40:43], v140, v137 op_sel_hi:[0,0,0] cbsz:4 blgp:4// 000000004328: D3AC6800 0003138C D3AD8C28 84A2314C
	ds_read_b128 v[64:67], v150 offset:12736                   // 000000004338: D9FE31C0 40000096
	v_mfma_scale_f32_16x16x128_f8f6f4 a[44:47], v[76:79], v[28:31], a[44:47], v140, v137 op_sel_hi:[0,0,0] cbsz:4 blgp:4// 000000004340: D3AC7800 0003138C D3AD8C2C 84B2394C
	v_mfma_scale_f32_16x16x128_f8f6f4 a[32:35], v[80:83], v[32:35], a[32:35], v140, v137 op_sel_hi:[0,0,0] cbsz:4 blgp:4// 000000004350: D3AC6000 1803138C D3AD8C20 84824150
	ds_read_b128 v[60:63], v150 offset:13184                   // 000000004360: D9FE3380 3C000096
	v_mfma_scale_f32_16x16x128_f8f6f4 a[36:39], v[80:83], v[36:39], a[36:39], v140, v137 op_sel_hi:[0,0,0] cbsz:4 blgp:4// 000000004368: D3AC7000 1803138C D3AD8C24 84924950
	buffer_load_dwordx4 v[132:135], v157, s[16:19], 0 offen offset:1024// 000000004378: E05C1400 8004849D
	v_mfma_scale_f32_16x16x128_f8f6f4 a[40:43], v[84:87], v[32:35], a[40:43], v140, v137 op_sel_hi:[0,0,0] cbsz:4 blgp:4// 000000004380: D3AC6800 1803138C D3AD8C28 84A24154
	ds_read_b128 v[68:71], v150 offset:13248                   // 000000004390: D9FE33C0 44000096
	v_mfma_scale_f32_16x16x128_f8f6f4 a[44:47], v[84:87], v[36:39], a[44:47], v140, v137 op_sel_hi:[0,0,0] cbsz:4 blgp:4// 000000004398: D3AC7800 1803138C D3AD8C2C 84B24954
	ds_read_b32 v139, v153 offset:2816                         // 0000000043A8: D86C0B00 8B000099
	s_waitcnt lgkmcnt(5)                                       // 0000000043B0: BF8CC57F
	v_mfma_scale_f32_16x16x128_f8f6f4 a[64:67], v[72:75], v[40:43], a[64:67], v140, v138 op_sel_hi:[0,0,0] cbsz:4 blgp:4// 0000000043B4: D3AC6000 0003158C D3AD8C40 85025148
	v_mfma_scale_f32_16x16x128_f8f6f4 a[68:71], v[72:75], v[44:47], a[68:71], v140, v138 op_sel_hi:[0,0,0] cbsz:4 blgp:4// 0000000043C4: D3AC7000 0003158C D3AD8C44 85125948
	buffer_load_dword v143, v159, s[24:27], 0 offen            // 0000000043D4: E0501000 80068F9F
	v_mfma_scale_f32_16x16x128_f8f6f4 a[72:75], v[76:79], v[40:43], a[72:75], v140, v138 op_sel_hi:[0,0,0] cbsz:4 blgp:4// 0000000043DC: D3AC6800 0003158C D3AD8C48 8522514C
	s_add_u32 s16, s16, s67                                    // 0000000043EC: 80104310
	s_addc_u32 s17, 0, s17                                     // 0000000043F0: 82111180
	v_mfma_scale_f32_16x16x128_f8f6f4 a[76:79], v[76:79], v[44:47], a[76:79], v140, v138 op_sel_hi:[0,0,0] cbsz:4 blgp:4// 0000000043F4: D3AC7800 0003158C D3AD8C4C 8532594C
	s_sub_u32 s18, s18, s67                                    // 000000004404: 80924312
	s_add_u32 s24, s24, s69                                    // 000000004408: 80184518
	v_mfma_scale_f32_16x16x128_f8f6f4 a[64:67], v[80:83], v[48:51], a[64:67], v140, v138 op_sel_hi:[0,0,0] cbsz:4 blgp:4// 00000000440C: D3AC6000 1803158C D3AD8C40 85026150
	s_addc_u32 s25, 0, s25                                     // 00000000441C: 82191980
	s_sub_u32 s26, s26, s69                                    // 000000004420: 809A451A
	v_mfma_scale_f32_16x16x128_f8f6f4 a[68:71], v[80:83], v[52:55], a[68:71], v140, v138 op_sel_hi:[0,0,0] cbsz:4 blgp:4// 000000004424: D3AC7000 1803158C D3AD8C44 85126950
	s_add_u32 m0, 0, s65                                       // 000000004434: 807C4180
	buffer_load_dword v152, s[20:23], 0 offen lds              // 000000004438: E0511000 80050098
	v_mfma_scale_f32_16x16x128_f8f6f4 a[72:75], v[84:87], v[48:51], a[72:75], v140, v138 op_sel_hi:[0,0,0] cbsz:4 blgp:4// 000000004440: D3AC6800 1803158C D3AD8C48 85226154
	v_mfma_scale_f32_16x16x128_f8f6f4 a[76:79], v[84:87], v[52:55], a[76:79], v140, v138 op_sel_hi:[0,0,0] cbsz:4 blgp:4// 000000004450: D3AC7800 1803158C D3AD8C4C 85326954
	s_waitcnt lgkmcnt(0)                                       // 000000004460: BF8CC07F
	v_mfma_scale_f32_16x16x128_f8f6f4 a[96:99], v[72:75], v[56:59], a[96:99], v140, v139 op_sel_hi:[0,0,0] cbsz:4 blgp:4// 000000004464: D3AC6000 0003178C D3AD8C60 85827148
	v_mfma_scale_f32_16x16x128_f8f6f4 a[100:103], v[72:75], v[60:63], a[100:103], v140, v139 op_sel_hi:[0,0,0] cbsz:4 blgp:4// 000000004474: D3AC7000 0003178C D3AD8C64 85927948
	s_add_u32 m0, 0, s64                                       // 000000004484: 807C4080
	buffer_load_dwordx4 v144, s[12:15], 0 offen lds            // 000000004488: E05D1000 80030090
	v_mfma_scale_f32_16x16x128_f8f6f4 a[104:107], v[76:79], v[56:59], a[104:107], v140, v139 op_sel_hi:[0,0,0] cbsz:4 blgp:4// 000000004490: D3AC6800 0003178C D3AD8C68 85A2714C
	v_mfma_scale_f32_16x16x128_f8f6f4 a[108:111], v[76:79], v[60:63], a[108:111], v140, v139 op_sel_hi:[0,0,0] cbsz:4 blgp:4// 0000000044A0: D3AC7800 0003178C D3AD8C6C 85B2794C
	v_mfma_scale_f32_16x16x128_f8f6f4 a[96:99], v[80:83], v[64:67], a[96:99], v140, v139 op_sel_hi:[0,0,0] cbsz:4 blgp:4// 0000000044B0: D3AC6000 1803178C D3AD8C60 85828150
	v_mfma_scale_f32_16x16x128_f8f6f4 a[100:103], v[80:83], v[68:71], a[100:103], v140, v139 op_sel_hi:[0,0,0] cbsz:4 blgp:4// 0000000044C0: D3AC7000 1803178C D3AD8C64 85928950
	v_mfma_scale_f32_16x16x128_f8f6f4 a[104:107], v[84:87], v[64:67], a[104:107], v140, v139 op_sel_hi:[0,0,0] cbsz:4 blgp:4// 0000000044D0: D3AC6800 1803178C D3AD8C68 85A28154
	v_mfma_scale_f32_16x16x128_f8f6f4 a[108:111], v[84:87], v[68:71], a[108:111], v140, v139 op_sel_hi:[0,0,0] cbsz:4 blgp:4// 0000000044E0: D3AC7800 1803178C D3AD8C6C 85B28954
	s_waitcnt vmcnt(17)                                        // 0000000044F0: BF8C4F71
	v_mfma_scale_f32_16x16x128_f8f6f4 a[16:19], v[88:91], v[8:11], a[16:19], v141, v136 op_sel_hi:[0,0,0] cbsz:4 blgp:4// 0000000044F4: D3AC6000 0003118D D3AD8C10 84421158
	v_mfma_scale_f32_16x16x128_f8f6f4 a[20:23], v[88:91], v[12:15], a[20:23], v141, v136 op_sel_hi:[0,0,0] cbsz:4 blgp:4// 000000004504: D3AC7000 0003118D D3AD8C14 84521958
	s_add_u32 m0, 0x1080, s64                                  // 000000004514: 807C40FF 00001080
	buffer_load_dwordx4 v145, s[12:15], 0 offen lds            // 00000000451C: E05D1000 80030091
	v_mfma_scale_f32_16x16x128_f8f6f4 a[24:27], v[92:95], v[8:11], a[24:27], v141, v136 op_sel_hi:[0,0,0] cbsz:4 blgp:4// 000000004524: D3AC6800 0003118D D3AD8C18 8462115C
	v_mfma_scale_f32_16x16x128_f8f6f4 a[28:31], v[92:95], v[12:15], a[28:31], v141, v136 op_sel_hi:[0,0,0] cbsz:4 blgp:4// 000000004534: D3AC7800 0003118D D3AD8C1C 8472195C
	v_mfma_scale_f32_16x16x128_f8f6f4 a[16:19], v[96:99], v[16:19], a[16:19], v141, v136 op_sel_hi:[0,0,0] cbsz:4 blgp:4// 000000004544: D3AC6000 1803118D D3AD8C10 84422160
	v_mfma_scale_f32_16x16x128_f8f6f4 a[20:23], v[96:99], v[20:23], a[20:23], v141, v136 op_sel_hi:[0,0,0] cbsz:4 blgp:4// 000000004554: D3AC7000 1803118D D3AD8C14 84522960
	s_add_u32 m0, 0x2100, s64                                  // 000000004564: 807C40FF 00002100
	buffer_load_dwordx4 v146, s[12:15], 0 offen lds            // 00000000456C: E05D1000 80030092
	v_mfma_scale_f32_16x16x128_f8f6f4 a[24:27], v[100:103], v[16:19], a[24:27], v141, v136 op_sel_hi:[0,0,0] cbsz:4 blgp:4// 000000004574: D3AC6800 1803118D D3AD8C18 84622164
	v_mfma_scale_f32_16x16x128_f8f6f4 a[28:31], v[100:103], v[20:23], a[28:31], v141, v136 op_sel_hi:[0,0,0] cbsz:4 blgp:4// 000000004584: D3AC7800 1803118D D3AD8C1C 84722964
	v_mfma_scale_f32_16x16x128_f8f6f4 a[48:51], v[88:91], v[24:27], a[48:51], v141, v137 op_sel_hi:[0,0,0] cbsz:4 blgp:4// 000000004594: D3AC6000 0003138D D3AD8C30 84C23158
	v_mfma_scale_f32_16x16x128_f8f6f4 a[52:55], v[88:91], v[28:31], a[52:55], v141, v137 op_sel_hi:[0,0,0] cbsz:4 blgp:4// 0000000045A4: D3AC7000 0003138D D3AD8C34 84D23958
	s_add_u32 m0, 0x3180, s64                                  // 0000000045B4: 807C40FF 00003180
	buffer_load_dwordx4 v147, s[12:15], 0 offen lds            // 0000000045BC: E05D1000 80030093
	v_mfma_scale_f32_16x16x128_f8f6f4 a[56:59], v[92:95], v[24:27], a[56:59], v141, v137 op_sel_hi:[0,0,0] cbsz:4 blgp:4// 0000000045C4: D3AC6800 0003138D D3AD8C38 84E2315C
	s_add_u32 s62, 0x300, s60                                  // 0000000045D4: 803E3CFF 00000300
	s_cmp_lt_u32 s62, s61                                      // 0000000045DC: BF0A3D3E
	v_mfma_scale_f32_16x16x128_f8f6f4 a[60:63], v[92:95], v[28:31], a[60:63], v141, v137 op_sel_hi:[0,0,0] cbsz:4 blgp:4// 0000000045E0: D3AC7800 0003138D D3AD8C3C 84F2395C
	s_cselect_b32 s66, s66, 0                                  // 0000000045F0: 85428042
	s_cselect_b32 s68, s68, 0                                  // 0000000045F4: 85448044
	v_mfma_scale_f32_16x16x128_f8f6f4 a[48:51], v[96:99], v[32:35], a[48:51], v141, v137 op_sel_hi:[0,0,0] cbsz:4 blgp:4// 0000000045F8: D3AC6000 1803138D D3AD8C30 84C24160
	s_add_u32 s12, s12, s66                                    // 000000004608: 800C420C
	s_addc_u32 s13, 0, s13                                     // 00000000460C: 820D0D80
	v_mfma_scale_f32_16x16x128_f8f6f4 a[52:55], v[96:99], v[36:39], a[52:55], v141, v137 op_sel_hi:[0,0,0] cbsz:4 blgp:4// 000000004610: D3AC7000 1803138D D3AD8C34 84D24960
	s_sub_u32 s14, s14, s66                                    // 000000004620: 808E420E
	buffer_load_dwordx4 v[72:75], v154, s[16:19], 0 offen      // 000000004624: E05C1000 8004489A
	v_mfma_scale_f32_16x16x128_f8f6f4 a[56:59], v[100:103], v[32:35], a[56:59], v141, v137 op_sel_hi:[0,0,0] cbsz:4 blgp:4// 00000000462C: D3AC6800 1803138D D3AD8C38 84E24164
	s_add_u32 s20, s20, s68                                    // 00000000463C: 80144414
	s_addc_u32 s21, 0, s21                                     // 000000004640: 82151580
	v_mfma_scale_f32_16x16x128_f8f6f4 a[60:63], v[100:103], v[36:39], a[60:63], v141, v137 op_sel_hi:[0,0,0] cbsz:4 blgp:4// 000000004644: D3AC7800 1803138D D3AD8C3C 84F24964
	s_sub_u32 s22, s22, s68                                    // 000000004654: 80964416
	s_addk_i32 s60, 0x100                                      // 000000004658: B73C0100
	s_waitcnt vmcnt(18)                                        // 00000000465C: BF8C4F72
	s_barrier                                                  // 000000004660: BF8A0000
	v_mfma_scale_f32_16x16x128_f8f6f4 a[80:83], v[88:91], v[40:43], a[80:83], v141, v138 op_sel_hi:[0,0,0] cbsz:4 blgp:4// 000000004664: D3AC6000 0003158D D3AD8C50 85425158
	s_cmp_lt_i32 s60, s61                                      // 000000004674: BF043D3C
	ds_read_b128 v[8:11], v151                                 // 000000004678: D9FE0000 08000097
	v_mfma_scale_f32_16x16x128_f8f6f4 a[84:87], v[88:91], v[44:47], a[84:87], v141, v138 op_sel_hi:[0,0,0] cbsz:4 blgp:4// 000000004680: D3AC7000 0003158D D3AD8C54 85525958
	buffer_load_dwordx4 v[76:79], v155, s[16:19], 0 offen      // 000000004690: E05C1000 80044C9B
	v_mfma_scale_f32_16x16x128_f8f6f4 a[88:91], v[92:95], v[40:43], a[88:91], v141, v138 op_sel_hi:[0,0,0] cbsz:4 blgp:4// 000000004698: D3AC6800 0003158D D3AD8C58 8562515C
	ds_read_b128 v[16:19], v151 offset:64                      // 0000000046A8: D9FE0040 10000097
	v_mfma_scale_f32_16x16x128_f8f6f4 a[92:95], v[92:95], v[44:47], a[92:95], v141, v138 op_sel_hi:[0,0,0] cbsz:4 blgp:4// 0000000046B0: D3AC7800 0003158D D3AD8C5C 8572595C
	v_mfma_scale_f32_16x16x128_f8f6f4 a[80:83], v[96:99], v[48:51], a[80:83], v141, v138 op_sel_hi:[0,0,0] cbsz:4 blgp:4// 0000000046C0: D3AC0000 1803158D D3AD8C50 85426160
	ds_read_b128 v[12:15], v151 offset:512                     // 0000000046D0: D9FE0200 0C000097
	v_mfma_scale_f32_16x16x128_f8f6f4 a[84:87], v[96:99], v[52:55], a[84:87], v141, v138 op_sel_hi:[0,0,0] cbsz:4 blgp:4// 0000000046D8: D3AC7000 1803158D D3AD8C54 85526960
	buffer_load_dwordx4 v[80:83], v154, s[16:19], 0 offen offset:1024// 0000000046E8: E05C1400 8004509A
	v_mfma_scale_f32_16x16x128_f8f6f4 a[88:91], v[100:103], v[48:51], a[88:91], v141, v138 op_sel_hi:[0,0,0] cbsz:4 blgp:4// 0000000046F0: D3AC6800 1803158D D3AD8C58 85626164
	ds_read_b128 v[20:23], v151 offset:576                     // 000000004700: D9FE0240 14000097
	v_mfma_scale_f32_16x16x128_f8f6f4 a[92:95], v[100:103], v[52:55], a[92:95], v141, v138 op_sel_hi:[0,0,0] cbsz:4 blgp:4// 000000004708: D3AC7800 1803158D D3AD8C5C 85726964
	ds_read_b32 v136, v153 offset:3072                         // 000000004718: D86C0C00 88000099
	v_mfma_scale_f32_16x16x128_f8f6f4 a[112:115], v[88:91], v[56:59], a[112:115], v141, v139 op_sel_hi:[0,0,0] cbsz:4 blgp:4// 000000004720: D3AC6000 0003178D D3AD8C70 85C27158
	ds_read_b128 v[24:27], v151 offset:4224                    // 000000004730: D9FE1080 18000097
	v_mfma_scale_f32_16x16x128_f8f6f4 a[116:119], v[88:91], v[60:63], a[116:119], v141, v139 op_sel_hi:[0,0,0] cbsz:4 blgp:4// 000000004738: D3AC7000 0003178D D3AD8C74 85D27958
	buffer_load_dwordx4 v[84:87], v155, s[16:19], 0 offen offset:1024// 000000004748: E05C1400 8004549B
	v_mfma_scale_f32_16x16x128_f8f6f4 a[120:123], v[92:95], v[56:59], a[120:123], v141, v139 op_sel_hi:[0,0,0] cbsz:4 blgp:4// 000000004750: D3AC6800 0003178D D3AD8C78 85E2715C
	ds_read_b128 v[32:35], v151 offset:4288                    // 000000004760: D9FE10C0 20000097
	v_mfma_scale_f32_16x16x128_f8f6f4 a[124:127], v[92:95], v[60:63], a[124:127], v141, v139 op_sel_hi:[0,0,0] cbsz:4 blgp:4// 000000004768: D3AC7800 0003178D D3AD8C7C 85F2795C
	v_mfma_scale_f32_16x16x128_f8f6f4 a[112:115], v[96:99], v[64:67], a[112:115], v141, v139 op_sel_hi:[0,0,0] cbsz:4 blgp:4// 000000004778: D3AC6000 1803178D D3AD8C70 85C28160
	ds_read_b128 v[28:31], v151 offset:4736                    // 000000004788: D9FE1280 1C000097
	v_mfma_scale_f32_16x16x128_f8f6f4 a[116:119], v[96:99], v[68:71], a[116:119], v141, v139 op_sel_hi:[0,0,0] cbsz:4 blgp:4// 000000004790: D3AC7000 1803178D D3AD8C74 85D28960
	buffer_load_dword v140, v158, s[24:27], 0 offen            // 0000000047A0: E0501000 80068C9E
	v_mfma_scale_f32_16x16x128_f8f6f4 a[120:123], v[100:103], v[64:67], a[120:123], v141, v139 op_sel_hi:[0,0,0] cbsz:4 blgp:4// 0000000047A8: D3AC6800 1803178D D3AD8C78 85E28164
	ds_read_b128 v[36:39], v151 offset:4800                    // 0000000047B8: D9FE12C0 24000097
	v_mfma_scale_f32_16x16x128_f8f6f4 a[124:127], v[100:103], v[68:71], a[124:127], v141, v139 op_sel_hi:[0,0,0] cbsz:4 blgp:4// 0000000047C0: D3AC7800 1803178D D3AD8C7C 85F28964
	ds_read_b32 v137, v153 offset:3328                         // 0000000047D0: D86C0D00 89000099
	s_cbranch_scc0 label_0E2C                                  // 0000000047D8: BF840735
	s_waitcnt vmcnt(15) lgkmcnt(5)                             // 0000000047DC: BF8C057F
	s_barrier                                                  // 0000000047E0: BF8A0000
	v_mfma_scale_f32_16x16x128_f8f6f4 a[0:3], v[104:107], v[8:11], a[0:3], v142, v136 op_sel_hi:[0,0,0] cbsz:4 blgp:4// 0000000047E4: D3AC6000 0003118E D3AD8C00 84021168
	s_add_u32 s63, 0x200, s60                                  // 0000000047F4: 803F3CFF 00000200
	ds_read_b128 v[40:43], v151 offset:8448                    // 0000000047FC: D9FE2100 28000097
	v_mfma_scale_f32_16x16x128_f8f6f4 a[4:7], v[104:107], v[12:15], a[4:7], v142, v136 op_sel_hi:[0,0,0] cbsz:4 blgp:4// 000000004804: D3AC7000 0003118E D3AD8C04 84121968
	s_cmp_lt_u32 s63, s61                                      // 000000004814: BF0A3D3F
	buffer_load_dwordx4 v[88:91], v156, s[16:19], 0 offen      // 000000004818: E05C1000 8004589C
	v_mfma_scale_f32_16x16x128_f8f6f4 a[8:11], v[108:111], v[8:11], a[8:11], v142, v136 op_sel_hi:[0,0,0] cbsz:4 blgp:4// 000000004820: D3AC6800 0003118E D3AD8C08 8422116C
	s_cselect_b32 s67, s67, 0                                  // 000000004830: 85438043
	ds_read_b128 v[48:51], v151 offset:8512                    // 000000004834: D9FE2140 30000097
	v_mfma_scale_f32_16x16x128_f8f6f4 a[12:15], v[108:111], v[12:15], a[12:15], v142, v136 op_sel_hi:[0,0,0] cbsz:4 blgp:4// 00000000483C: D3AC7800 0003118E D3AD8C0C 8432196C
	s_cselect_b32 s69, s69, 0                                  // 00000000484C: 85458045
	v_mfma_scale_f32_16x16x128_f8f6f4 a[0:3], v[112:115], v[16:19], a[0:3], v142, v136 op_sel_hi:[0,0,0] cbsz:4 blgp:4// 000000004850: D3AC6000 1803118E D3AD8C00 84022170
	ds_read_b128 v[44:47], v151 offset:8960                    // 000000004860: D9FE2300 2C000097
	v_mfma_scale_f32_16x16x128_f8f6f4 a[4:7], v[112:115], v[20:23], a[4:7], v142, v136 op_sel_hi:[0,0,0] cbsz:4 blgp:4// 000000004868: D3AC7000 1803118E D3AD8C04 84122970
	buffer_load_dwordx4 v[92:95], v157, s[16:19], 0 offen      // 000000004878: E05C1000 80045C9D
	v_mfma_scale_f32_16x16x128_f8f6f4 a[8:11], v[116:119], v[16:19], a[8:11], v142, v136 op_sel_hi:[0,0,0] cbsz:4 blgp:4// 000000004880: D3AC6800 1803118E D3AD8C08 84222174
	ds_read_b128 v[52:55], v151 offset:9024                    // 000000004890: D9FE2340 34000097
	v_mfma_scale_f32_16x16x128_f8f6f4 a[12:15], v[116:119], v[20:23], a[12:15], v142, v136 op_sel_hi:[0,0,0] cbsz:4 blgp:4// 000000004898: D3AC7800 1803118E D3AD8C0C 84322974
	ds_read_b32 v138, v153 offset:3584                         // 0000000048A8: D86C0E00 8A000099
	s_waitcnt lgkmcnt(5)                                       // 0000000048B0: BF8CC57F
	v_mfma_scale_f32_16x16x128_f8f6f4 a[32:35], v[104:107], v[24:27], a[32:35], v142, v137 op_sel_hi:[0,0,0] cbsz:4 blgp:4// 0000000048B4: D3AC6000 0003138E D3AD8C20 84823168
	ds_read_b128 v[56:59], v151 offset:12672                   // 0000000048C4: D9FE3180 38000097
	v_mfma_scale_f32_16x16x128_f8f6f4 a[36:39], v[104:107], v[28:31], a[36:39], v142, v137 op_sel_hi:[0,0,0] cbsz:4 blgp:4// 0000000048CC: D3AC7000 0003138E D3AD8C24 84923968
	buffer_load_dwordx4 v[96:99], v156, s[16:19], 0 offen offset:1024// 0000000048DC: E05C1400 8004609C
	v_mfma_scale_f32_16x16x128_f8f6f4 a[40:43], v[108:111], v[24:27], a[40:43], v142, v137 op_sel_hi:[0,0,0] cbsz:4 blgp:4// 0000000048E4: D3AC6800 0003138E D3AD8C28 84A2316C
	ds_read_b128 v[64:67], v151 offset:12736                   // 0000000048F4: D9FE31C0 40000097
	v_mfma_scale_f32_16x16x128_f8f6f4 a[44:47], v[108:111], v[28:31], a[44:47], v142, v137 op_sel_hi:[0,0,0] cbsz:4 blgp:4// 0000000048FC: D3AC7800 0003138E D3AD8C2C 84B2396C
	v_mfma_scale_f32_16x16x128_f8f6f4 a[32:35], v[112:115], v[32:35], a[32:35], v142, v137 op_sel_hi:[0,0,0] cbsz:4 blgp:4// 00000000490C: D3AC6000 1803138E D3AD8C20 84824170
	ds_read_b128 v[60:63], v151 offset:13184                   // 00000000491C: D9FE3380 3C000097
	v_mfma_scale_f32_16x16x128_f8f6f4 a[36:39], v[112:115], v[36:39], a[36:39], v142, v137 op_sel_hi:[0,0,0] cbsz:4 blgp:4// 000000004924: D3AC7000 1803138E D3AD8C24 84924970
	buffer_load_dwordx4 v[100:103], v157, s[16:19], 0 offen offset:1024// 000000004934: E05C1400 8004649D
	v_mfma_scale_f32_16x16x128_f8f6f4 a[40:43], v[116:119], v[32:35], a[40:43], v142, v137 op_sel_hi:[0,0,0] cbsz:4 blgp:4// 00000000493C: D3AC6800 1803138E D3AD8C28 84A24174
	ds_read_b128 v[68:71], v151 offset:13248                   // 00000000494C: D9FE33C0 44000097
	v_mfma_scale_f32_16x16x128_f8f6f4 a[44:47], v[116:119], v[36:39], a[44:47], v142, v137 op_sel_hi:[0,0,0] cbsz:4 blgp:4// 000000004954: D3AC7800 1803138E D3AD8C2C 84B24974
	ds_read_b32 v139, v153 offset:3840                         // 000000004964: D86C0F00 8B000099
	s_waitcnt lgkmcnt(5)                                       // 00000000496C: BF8CC57F
	v_mfma_scale_f32_16x16x128_f8f6f4 a[64:67], v[104:107], v[40:43], a[64:67], v142, v138 op_sel_hi:[0,0,0] cbsz:4 blgp:4// 000000004970: D3AC6000 0003158E D3AD8C40 85025168
	v_mfma_scale_f32_16x16x128_f8f6f4 a[68:71], v[104:107], v[44:47], a[68:71], v142, v138 op_sel_hi:[0,0,0] cbsz:4 blgp:4// 000000004980: D3AC7000 0003158E D3AD8C44 85125968
	buffer_load_dword v141, v159, s[24:27], 0 offen            // 000000004990: E0501000 80068D9F
	v_mfma_scale_f32_16x16x128_f8f6f4 a[72:75], v[108:111], v[40:43], a[72:75], v142, v138 op_sel_hi:[0,0,0] cbsz:4 blgp:4// 000000004998: D3AC6800 0003158E D3AD8C48 8522516C
	s_add_u32 s16, s16, s67                                    // 0000000049A8: 80104310
	s_addc_u32 s17, 0, s17                                     // 0000000049AC: 82111180
	v_mfma_scale_f32_16x16x128_f8f6f4 a[76:79], v[108:111], v[44:47], a[76:79], v142, v138 op_sel_hi:[0,0,0] cbsz:4 blgp:4// 0000000049B0: D3AC7800 0003158E D3AD8C4C 8532596C
	s_sub_u32 s18, s18, s67                                    // 0000000049C0: 80924312
	s_add_u32 s24, s24, s69                                    // 0000000049C4: 80184518
	v_mfma_scale_f32_16x16x128_f8f6f4 a[64:67], v[112:115], v[48:51], a[64:67], v142, v138 op_sel_hi:[0,0,0] cbsz:4 blgp:4// 0000000049C8: D3AC6000 1803158E D3AD8C40 85026170
	s_addc_u32 s25, 0, s25                                     // 0000000049D8: 82191980
	s_sub_u32 s26, s26, s69                                    // 0000000049DC: 809A451A
	v_mfma_scale_f32_16x16x128_f8f6f4 a[68:71], v[112:115], v[52:55], a[68:71], v142, v138 op_sel_hi:[0,0,0] cbsz:4 blgp:4// 0000000049E0: D3AC7000 1803158E D3AD8C44 85126970
	s_add_u32 m0, 0x400, s65                                   // 0000000049F0: 807C41FF 00000400
	buffer_load_dword v152, s[20:23], 0 offen lds              // 0000000049F8: E0511000 80050098
	v_mfma_scale_f32_16x16x128_f8f6f4 a[72:75], v[116:119], v[48:51], a[72:75], v142, v138 op_sel_hi:[0,0,0] cbsz:4 blgp:4// 000000004A00: D3AC6800 1803158E D3AD8C48 85226174
	v_mfma_scale_f32_16x16x128_f8f6f4 a[76:79], v[116:119], v[52:55], a[76:79], v142, v138 op_sel_hi:[0,0,0] cbsz:4 blgp:4// 000000004A10: D3AC7800 1803158E D3AD8C4C 85326974
	s_waitcnt lgkmcnt(0)                                       // 000000004A20: BF8CC07F
	v_mfma_scale_f32_16x16x128_f8f6f4 a[96:99], v[104:107], v[56:59], a[96:99], v142, v139 op_sel_hi:[0,0,0] cbsz:4 blgp:4// 000000004A24: D3AC6000 0003178E D3AD8C60 85827168
	v_mfma_scale_f32_16x16x128_f8f6f4 a[100:103], v[104:107], v[60:63], a[100:103], v142, v139 op_sel_hi:[0,0,0] cbsz:4 blgp:4// 000000004A34: D3AC7000 0003178E D3AD8C64 85927968
	s_add_u32 m0, 0x4200, s64                                  // 000000004A44: 807C40FF 00004200
	buffer_load_dwordx4 v144, s[12:15], 0 offen lds            // 000000004A4C: E05D1000 80030090
	v_mfma_scale_f32_16x16x128_f8f6f4 a[104:107], v[108:111], v[56:59], a[104:107], v142, v139 op_sel_hi:[0,0,0] cbsz:4 blgp:4// 000000004A54: D3AC6800 0003178E D3AD8C68 85A2716C
	v_mfma_scale_f32_16x16x128_f8f6f4 a[108:111], v[108:111], v[60:63], a[108:111], v142, v139 op_sel_hi:[0,0,0] cbsz:4 blgp:4// 000000004A64: D3AC7800 0003178E D3AD8C6C 85B2796C
	v_mfma_scale_f32_16x16x128_f8f6f4 a[96:99], v[112:115], v[64:67], a[96:99], v142, v139 op_sel_hi:[0,0,0] cbsz:4 blgp:4// 000000004A74: D3AC6000 1803178E D3AD8C60 85828170
	v_mfma_scale_f32_16x16x128_f8f6f4 a[100:103], v[112:115], v[68:71], a[100:103], v142, v139 op_sel_hi:[0,0,0] cbsz:4 blgp:4// 000000004A84: D3AC7000 1803178E D3AD8C64 85928970
	v_mfma_scale_f32_16x16x128_f8f6f4 a[104:107], v[116:119], v[64:67], a[104:107], v142, v139 op_sel_hi:[0,0,0] cbsz:4 blgp:4// 000000004A94: D3AC6800 1803178E D3AD8C68 85A28174
	v_mfma_scale_f32_16x16x128_f8f6f4 a[108:111], v[116:119], v[68:71], a[108:111], v142, v139 op_sel_hi:[0,0,0] cbsz:4 blgp:4// 000000004AA4: D3AC7800 1803178E D3AD8C6C 85B28974
	s_waitcnt vmcnt(17)                                        // 000000004AB4: BF8C4F71
	v_mfma_scale_f32_16x16x128_f8f6f4 a[16:19], v[120:123], v[8:11], a[16:19], v143, v136 op_sel_hi:[0,0,0] cbsz:4 blgp:4// 000000004AB8: D3AC6000 0003118F D3AD8C10 84421178
	v_mfma_scale_f32_16x16x128_f8f6f4 a[20:23], v[120:123], v[12:15], a[20:23], v143, v136 op_sel_hi:[0,0,0] cbsz:4 blgp:4// 000000004AC8: D3AC7000 0003118F D3AD8C14 84521978
	s_add_u32 m0, 0x5280, s64                                  // 000000004AD8: 807C40FF 00005280
	buffer_load_dwordx4 v145, s[12:15], 0 offen lds            // 000000004AE0: E05D1000 80030091
	v_mfma_scale_f32_16x16x128_f8f6f4 a[24:27], v[124:127], v[8:11], a[24:27], v143, v136 op_sel_hi:[0,0,0] cbsz:4 blgp:4// 000000004AE8: D3AC6800 0003118F D3AD8C18 8462117C
	v_mfma_scale_f32_16x16x128_f8f6f4 a[28:31], v[124:127], v[12:15], a[28:31], v143, v136 op_sel_hi:[0,0,0] cbsz:4 blgp:4// 000000004AF8: D3AC7800 0003118F D3AD8C1C 8472197C
	v_mfma_scale_f32_16x16x128_f8f6f4 a[16:19], v[128:131], v[16:19], a[16:19], v143, v136 op_sel_hi:[0,0,0] cbsz:4 blgp:4// 000000004B08: D3AC6000 1803118F D3AD8C10 84422180
	v_mfma_scale_f32_16x16x128_f8f6f4 a[20:23], v[128:131], v[20:23], a[20:23], v143, v136 op_sel_hi:[0,0,0] cbsz:4 blgp:4// 000000004B18: D3AC7000 1803118F D3AD8C14 84522980
	s_add_u32 m0, 0x6300, s64                                  // 000000004B28: 807C40FF 00006300
	buffer_load_dwordx4 v146, s[12:15], 0 offen lds            // 000000004B30: E05D1000 80030092
	v_mfma_scale_f32_16x16x128_f8f6f4 a[24:27], v[132:135], v[16:19], a[24:27], v143, v136 op_sel_hi:[0,0,0] cbsz:4 blgp:4// 000000004B38: D3AC6800 1803118F D3AD8C18 84622184
	v_mfma_scale_f32_16x16x128_f8f6f4 a[28:31], v[132:135], v[20:23], a[28:31], v143, v136 op_sel_hi:[0,0,0] cbsz:4 blgp:4// 000000004B48: D3AC7800 1803118F D3AD8C1C 84722984
	v_mfma_scale_f32_16x16x128_f8f6f4 a[48:51], v[120:123], v[24:27], a[48:51], v143, v137 op_sel_hi:[0,0,0] cbsz:4 blgp:4// 000000004B58: D3AC6000 0003138F D3AD8C30 84C23178
	v_mfma_scale_f32_16x16x128_f8f6f4 a[52:55], v[120:123], v[28:31], a[52:55], v143, v137 op_sel_hi:[0,0,0] cbsz:4 blgp:4// 000000004B68: D3AC7000 0003138F D3AD8C34 84D23978
	s_add_u32 m0, 0x7380, s64                                  // 000000004B78: 807C40FF 00007380
	buffer_load_dwordx4 v147, s[12:15], 0 offen lds            // 000000004B80: E05D1000 80030093
	v_mfma_scale_f32_16x16x128_f8f6f4 a[56:59], v[124:127], v[24:27], a[56:59], v143, v137 op_sel_hi:[0,0,0] cbsz:4 blgp:4// 000000004B88: D3AC6800 0003138F D3AD8C38 84E2317C
	s_add_u32 s62, 0x300, s60                                  // 000000004B98: 803E3CFF 00000300
	s_cmp_lt_u32 s62, s61                                      // 000000004BA0: BF0A3D3E
	v_mfma_scale_f32_16x16x128_f8f6f4 a[60:63], v[124:127], v[28:31], a[60:63], v143, v137 op_sel_hi:[0,0,0] cbsz:4 blgp:4// 000000004BA4: D3AC7800 0003138F D3AD8C3C 84F2397C
	s_cselect_b32 s66, s66, 0                                  // 000000004BB4: 85428042
	s_cselect_b32 s68, s68, 0                                  // 000000004BB8: 85448044
	v_mfma_scale_f32_16x16x128_f8f6f4 a[48:51], v[128:131], v[32:35], a[48:51], v143, v137 op_sel_hi:[0,0,0] cbsz:4 blgp:4// 000000004BBC: D3AC6000 1803138F D3AD8C30 84C24180
	s_add_u32 s12, s12, s66                                    // 000000004BCC: 800C420C
	s_addc_u32 s13, 0, s13                                     // 000000004BD0: 820D0D80
	v_mfma_scale_f32_16x16x128_f8f6f4 a[52:55], v[128:131], v[36:39], a[52:55], v143, v137 op_sel_hi:[0,0,0] cbsz:4 blgp:4// 000000004BD4: D3AC7000 1803138F D3AD8C34 84D24980
	s_sub_u32 s14, s14, s66                                    // 000000004BE4: 808E420E
	buffer_load_dwordx4 v[104:107], v154, s[16:19], 0 offen    // 000000004BE8: E05C1000 8004689A
	v_mfma_scale_f32_16x16x128_f8f6f4 a[56:59], v[132:135], v[32:35], a[56:59], v143, v137 op_sel_hi:[0,0,0] cbsz:4 blgp:4// 000000004BF0: D3AC6800 1803138F D3AD8C38 84E24184
	s_add_u32 s20, s20, s68                                    // 000000004C00: 80144414
	s_addc_u32 s21, 0, s21                                     // 000000004C04: 82151580
	v_mfma_scale_f32_16x16x128_f8f6f4 a[60:63], v[132:135], v[36:39], a[60:63], v143, v137 op_sel_hi:[0,0,0] cbsz:4 blgp:4// 000000004C08: D3AC7800 1803138F D3AD8C3C 84F24984
	s_sub_u32 s22, s22, s68                                    // 000000004C18: 80964416
	s_addk_i32 s60, 0x100                                      // 000000004C1C: B73C0100
	s_waitcnt vmcnt(18)                                        // 000000004C20: BF8C4F72
	s_barrier                                                  // 000000004C24: BF8A0000
	v_mfma_scale_f32_16x16x128_f8f6f4 a[80:83], v[120:123], v[40:43], a[80:83], v143, v138 op_sel_hi:[0,0,0] cbsz:4 blgp:4// 000000004C28: D3AC6000 0003158F D3AD8C50 85425178
	s_cmp_lt_i32 s60, s61                                      // 000000004C38: BF043D3C
	ds_read_b128 v[8:11], v148                                 // 000000004C3C: D9FE0000 08000094
	v_mfma_scale_f32_16x16x128_f8f6f4 a[84:87], v[120:123], v[44:47], a[84:87], v143, v138 op_sel_hi:[0,0,0] cbsz:4 blgp:4// 000000004C44: D3AC7000 0003158F D3AD8C54 85525978
	buffer_load_dwordx4 v[108:111], v155, s[16:19], 0 offen    // 000000004C54: E05C1000 80046C9B
	v_mfma_scale_f32_16x16x128_f8f6f4 a[88:91], v[124:127], v[40:43], a[88:91], v143, v138 op_sel_hi:[0,0,0] cbsz:4 blgp:4// 000000004C5C: D3AC6800 0003158F D3AD8C58 8562517C
	ds_read_b128 v[16:19], v148 offset:64                      // 000000004C6C: D9FE0040 10000094
	v_mfma_scale_f32_16x16x128_f8f6f4 a[92:95], v[124:127], v[44:47], a[92:95], v143, v138 op_sel_hi:[0,0,0] cbsz:4 blgp:4// 000000004C74: D3AC7800 0003158F D3AD8C5C 8572597C
	v_mfma_scale_f32_16x16x128_f8f6f4 a[80:83], v[128:131], v[48:51], a[80:83], v143, v138 op_sel_hi:[0,0,0] cbsz:4 blgp:4// 000000004C84: D3AC6000 1803158F D3AD8C50 85426180
	ds_read_b128 v[12:15], v148 offset:512                     // 000000004C94: D9FE0200 0C000094
	v_mfma_scale_f32_16x16x128_f8f6f4 a[84:87], v[128:131], v[52:55], a[84:87], v143, v138 op_sel_hi:[0,0,0] cbsz:4 blgp:4// 000000004C9C: D3AC7000 1803158F D3AD8C54 85526980
	buffer_load_dwordx4 v[112:115], v154, s[16:19], 0 offen offset:1024// 000000004CAC: E05C1400 8004709A
	v_mfma_scale_f32_16x16x128_f8f6f4 a[88:91], v[132:135], v[48:51], a[88:91], v143, v138 op_sel_hi:[0,0,0] cbsz:4 blgp:4// 000000004CB4: D3AC6800 1803158F D3AD8C58 85626184
	ds_read_b128 v[20:23], v148 offset:576                     // 000000004CC4: D9FE0240 14000094
	v_mfma_scale_f32_16x16x128_f8f6f4 a[92:95], v[132:135], v[52:55], a[92:95], v143, v138 op_sel_hi:[0,0,0] cbsz:4 blgp:4// 000000004CCC: D3AC7800 1803158F D3AD8C5C 85726984
	ds_read_b32 v136, v153                                     // 000000004CDC: D86C0000 88000099
	v_mfma_scale_f32_16x16x128_f8f6f4 a[112:115], v[120:123], v[56:59], a[112:115], v143, v139 op_sel_hi:[0,0,0] cbsz:4 blgp:4// 000000004CE4: D3AC6000 0003178F D3AD8C70 85C27178
	ds_read_b128 v[24:27], v148 offset:4224                    // 000000004CF4: D9FE1080 18000094
	v_mfma_scale_f32_16x16x128_f8f6f4 a[116:119], v[120:123], v[60:63], a[116:119], v143, v139 op_sel_hi:[0,0,0] cbsz:4 blgp:4// 000000004CFC: D3AC7000 0003178F D3AD8C74 85D27978
	buffer_load_dwordx4 v[116:119], v155, s[16:19], 0 offen offset:1024// 000000004D0C: E05C1400 8004749B
	v_mfma_scale_f32_16x16x128_f8f6f4 a[120:123], v[124:127], v[56:59], a[120:123], v143, v139 op_sel_hi:[0,0,0] cbsz:4 blgp:4// 000000004D14: D3AC6800 0003178F D3AD8C78 85E2717C
	ds_read_b128 v[32:35], v148 offset:4288                    // 000000004D24: D9FE10C0 20000094
	v_mfma_scale_f32_16x16x128_f8f6f4 a[124:127], v[124:127], v[60:63], a[124:127], v143, v139 op_sel_hi:[0,0,0] cbsz:4 blgp:4// 000000004D2C: D3AC7800 0003178F D3AD8C7C 85F2797C
	v_mfma_scale_f32_16x16x128_f8f6f4 a[112:115], v[128:131], v[64:67], a[112:115], v143, v139 op_sel_hi:[0,0,0] cbsz:4 blgp:4// 000000004D3C: D3AC6000 1803178F D3AD8C70 85C28180
	ds_read_b128 v[28:31], v148 offset:4736                    // 000000004D4C: D9FE1280 1C000094
	v_mfma_scale_f32_16x16x128_f8f6f4 a[116:119], v[128:131], v[68:71], a[116:119], v143, v139 op_sel_hi:[0,0,0] cbsz:4 blgp:4// 000000004D54: D3AC7000 1803178F D3AD8C74 85D28980
	buffer_load_dword v142, v158, s[24:27], 0 offen            // 000000004D64: E0501000 80068E9E
	v_mfma_scale_f32_16x16x128_f8f6f4 a[120:123], v[132:135], v[64:67], a[120:123], v143, v139 op_sel_hi:[0,0,0] cbsz:4 blgp:4// 000000004D6C: D3AC6800 1803178F D3AD8C78 85E28184
	ds_read_b128 v[36:39], v148 offset:4800                    // 000000004D7C: D9FE12C0 24000094
	v_mfma_scale_f32_16x16x128_f8f6f4 a[124:127], v[132:135], v[68:71], a[124:127], v143, v139 op_sel_hi:[0,0,0] cbsz:4 blgp:4// 000000004D84: D3AC7800 1803178F D3AD8C7C 85F28984
	ds_read_b32 v137, v153 offset:256                          // 000000004D94: D86C0100 89000099
	s_cbranch_scc0 label_0E2C                                  // 000000004D9C: BF8405C4
	s_branch label_02A6                                        // 000000004DA0: BF82FA3D

0000000000004da4 <label_0869>:
	s_waitcnt vmcnt(15) lgkmcnt(5)                             // 000000004DA4: BF8C057F
	s_barrier                                                  // 000000004DA8: BF8A0000
	v_mfma_scale_f32_16x16x128_f8f6f4 a[0:3], v[72:75], v[8:11], a[0:3], v140, v136 op_sel_hi:[0,0,0] cbsz:4 blgp:4// 000000004DAC: D3AC6000 0003118C D3AD8C00 84021148
	s_add_u32 s63, 0x200, s60                                  // 000000004DBC: 803F3CFF 00000200
	buffer_load_dwordx4 v[120:123], v156, s[16:19], 0 offen    // 000000004DC4: E05C1000 8004789C
	v_mfma_scale_f32_16x16x128_f8f6f4 a[4:7], v[72:75], v[12:15], a[4:7], v140, v136 op_sel_hi:[0,0,0] cbsz:4 blgp:4// 000000004DCC: D3AC7000 0003118C D3AD8C04 84121948
	s_cmp_lt_u32 s63, s61                                      // 000000004DDC: BF0A3D3F
	ds_read_b128 v[40:43], v148 offset:8448                    // 000000004DE0: D9FE2100 28000094
	v_mfma_scale_f32_16x16x128_f8f6f4 a[8:11], v[76:79], v[8:11], a[8:11], v140, v136 op_sel_hi:[0,0,0] cbsz:4 blgp:4// 000000004DE8: D3AC6800 0003118C D3AD8C08 8422114C
	s_cselect_b32 s67, s67, 0                                  // 000000004DF8: 85438043
	s_cselect_b32 s69, s69, 0                                  // 000000004DFC: 85458045
	v_mfma_scale_f32_16x16x128_f8f6f4 a[12:15], v[76:79], v[12:15], a[12:15], v140, v136 op_sel_hi:[0,0,0] cbsz:4 blgp:4// 000000004E00: D3AC7800 0003118C D3AD8C0C 8432194C
	ds_read_b128 v[48:51], v148 offset:8512                    // 000000004E10: D9FE2140 30000094
	v_mfma_scale_f32_16x16x128_f8f6f4 a[0:3], v[80:83], v[16:19], a[0:3], v140, v136 op_sel_hi:[0,0,0] cbsz:4 blgp:4// 000000004E18: D3AC6000 1803118C D3AD8C00 84022150
	buffer_load_dwordx4 v[124:127], v157, s[16:19], 0 offen    // 000000004E28: E05C1000 80047C9D
	v_mfma_scale_f32_16x16x128_f8f6f4 a[4:7], v[80:83], v[20:23], a[4:7], v140, v136 op_sel_hi:[0,0,0] cbsz:4 blgp:4// 000000004E30: D3AC7000 1803118C D3AD8C04 84122950
	ds_read_b128 v[44:47], v148 offset:8960                    // 000000004E40: D9FE2300 2C000094
	v_mfma_scale_f32_16x16x128_f8f6f4 a[8:11], v[84:87], v[16:19], a[8:11], v140, v136 op_sel_hi:[0,0,0] cbsz:4 blgp:4// 000000004E48: D3AC6800 1803118C D3AD8C08 84222154
	v_mfma_scale_f32_16x16x128_f8f6f4 a[12:15], v[84:87], v[20:23], a[12:15], v140, v136 op_sel_hi:[0,0,0] cbsz:4 blgp:4// 000000004E58: D3AC7800 1803118C D3AD8C0C 84322954
	ds_read_b128 v[52:55], v148 offset:9024                    // 000000004E68: D9FE2340 34000094
	ds_read_b32 v138, v153 offset:512                          // 000000004E70: D86C0200 8A000099
	s_waitcnt lgkmcnt(5)                                       // 000000004E78: BF8CC57F
	v_mfma_scale_f32_16x16x128_f8f6f4 a[32:35], v[72:75], v[24:27], a[32:35], v140, v137 op_sel_hi:[0,0,0] cbsz:4 blgp:4// 000000004E7C: D3AC6000 0003138C D3AD8C20 84823148
	buffer_load_dwordx4 v[128:131], v156, s[16:19], 0 offen offset:1024// 000000004E8C: E05C1400 8004809C
	v_mfma_scale_f32_16x16x128_f8f6f4 a[36:39], v[72:75], v[28:31], a[36:39], v140, v137 op_sel_hi:[0,0,0] cbsz:4 blgp:4// 000000004E94: D3AC7000 0003138C D3AD8C24 84923948
	ds_read_b128 v[56:59], v148 offset:12672                   // 000000004EA4: D9FE3180 38000094
	v_mfma_scale_f32_16x16x128_f8f6f4 a[40:43], v[76:79], v[24:27], a[40:43], v140, v137 op_sel_hi:[0,0,0] cbsz:4 blgp:4// 000000004EAC: D3AC6800 0003138C D3AD8C28 84A2314C
	v_mfma_scale_f32_16x16x128_f8f6f4 a[44:47], v[76:79], v[28:31], a[44:47], v140, v137 op_sel_hi:[0,0,0] cbsz:4 blgp:4// 000000004EBC: D3AC7800 0003138C D3AD8C2C 84B2394C
	ds_read_b128 v[64:67], v148 offset:12736                   // 000000004ECC: D9FE31C0 40000094
	v_mfma_scale_f32_16x16x128_f8f6f4 a[32:35], v[80:83], v[32:35], a[32:35], v140, v137 op_sel_hi:[0,0,0] cbsz:4 blgp:4// 000000004ED4: D3AC6000 1803138C D3AD8C20 84824150
	buffer_load_dwordx4 v[132:135], v157, s[16:19], 0 offen offset:1024// 000000004EE4: E05C1400 8004849D
	v_mfma_scale_f32_16x16x128_f8f6f4 a[36:39], v[80:83], v[36:39], a[36:39], v140, v137 op_sel_hi:[0,0,0] cbsz:4 blgp:4// 000000004EEC: D3AC7000 1803138C D3AD8C24 84924950
	ds_read_b128 v[60:63], v148 offset:13184                   // 000000004EFC: D9FE3380 3C000094
	v_mfma_scale_f32_16x16x128_f8f6f4 a[40:43], v[84:87], v[32:35], a[40:43], v140, v137 op_sel_hi:[0,0,0] cbsz:4 blgp:4// 000000004F04: D3AC6800 1803138C D3AD8C28 84A24154
	v_mfma_scale_f32_16x16x128_f8f6f4 a[44:47], v[84:87], v[36:39], a[44:47], v140, v137 op_sel_hi:[0,0,0] cbsz:4 blgp:4// 000000004F14: D3AC7800 1803138C D3AD8C2C 84B24954
	ds_read_b128 v[68:71], v148 offset:13248                   // 000000004F24: D9FE33C0 44000094
	ds_read_b32 v139, v153 offset:768                          // 000000004F2C: D86C0300 8B000099
	s_waitcnt lgkmcnt(5)                                       // 000000004F34: BF8CC57F
	v_mfma_scale_f32_16x16x128_f8f6f4 a[64:67], v[72:75], v[40:43], a[64:67], v140, v138 op_sel_hi:[0,0,0] cbsz:4 blgp:4// 000000004F38: D3AC6000 0003158C D3AD8C40 85025148
	buffer_load_dword v143, v159, s[24:27], 0 offen            // 000000004F48: E0501000 80068F9F
	v_mfma_scale_f32_16x16x128_f8f6f4 a[68:71], v[72:75], v[44:47], a[68:71], v140, v138 op_sel_hi:[0,0,0] cbsz:4 blgp:4// 000000004F50: D3AC7000 0003158C D3AD8C44 85125948
	s_add_u32 s16, s16, s67                                    // 000000004F60: 80104310
	s_addc_u32 s17, 0, s17                                     // 000000004F64: 82111180
	v_mfma_scale_f32_16x16x128_f8f6f4 a[72:75], v[76:79], v[40:43], a[72:75], v140, v138 op_sel_hi:[0,0,0] cbsz:4 blgp:4// 000000004F68: D3AC6800 0003158C D3AD8C48 8522514C
	s_sub_u32 s18, s18, s67                                    // 000000004F78: 80924312
	s_add_u32 s24, s24, s69                                    // 000000004F7C: 80184518
	v_mfma_scale_f32_16x16x128_f8f6f4 a[76:79], v[76:79], v[44:47], a[76:79], v140, v138 op_sel_hi:[0,0,0] cbsz:4 blgp:4// 000000004F80: D3AC7800 0003158C D3AD8C4C 8532594C
	s_addc_u32 s25, 0, s25                                     // 000000004F90: 82191980
	s_sub_u32 s26, s26, s69                                    // 000000004F94: 809A451A
	v_mfma_scale_f32_16x16x128_f8f6f4 a[64:67], v[80:83], v[48:51], a[64:67], v140, v138 op_sel_hi:[0,0,0] cbsz:4 blgp:4// 000000004F98: D3AC6000 1803158C D3AD8C40 85026150
	s_add_u32 m0, 0x800, s65                                   // 000000004FA8: 807C41FF 00000800
	buffer_load_dword v152, s[20:23], 0 offen lds              // 000000004FB0: E0511000 80050098
	v_mfma_scale_f32_16x16x128_f8f6f4 a[68:71], v[80:83], v[52:55], a[68:71], v140, v138 op_sel_hi:[0,0,0] cbsz:4 blgp:4// 000000004FB8: D3AC7000 1803158C D3AD8C44 85126950
	v_mfma_scale_f32_16x16x128_f8f6f4 a[72:75], v[84:87], v[48:51], a[72:75], v140, v138 op_sel_hi:[0,0,0] cbsz:4 blgp:4// 000000004FC8: D3AC6800 1803158C D3AD8C48 85226154
	v_mfma_scale_f32_16x16x128_f8f6f4 a[76:79], v[84:87], v[52:55], a[76:79], v140, v138 op_sel_hi:[0,0,0] cbsz:4 blgp:4// 000000004FD8: D3AC7800 1803158C D3AD8C4C 85326954
	s_waitcnt lgkmcnt(0)                                       // 000000004FE8: BF8CC07F
	v_mfma_scale_f32_16x16x128_f8f6f4 a[96:99], v[72:75], v[56:59], a[96:99], v140, v139 op_sel_hi:[0,0,0] cbsz:4 blgp:4// 000000004FEC: D3AC6000 0003178C D3AD8C60 85827148
	s_add_u32 m0, 0x8400, s64                                  // 000000004FFC: 807C40FF 00008400
	buffer_load_dwordx4 v144, s[12:15], 0 offen lds            // 000000005004: E05D1000 80030090
	v_mfma_scale_f32_16x16x128_f8f6f4 a[100:103], v[72:75], v[60:63], a[100:103], v140, v139 op_sel_hi:[0,0,0] cbsz:4 blgp:4// 00000000500C: D3AC7000 0003178C D3AD8C64 85927948
	v_mfma_scale_f32_16x16x128_f8f6f4 a[104:107], v[76:79], v[56:59], a[104:107], v140, v139 op_sel_hi:[0,0,0] cbsz:4 blgp:4// 00000000501C: D3AC6800 0003178C D3AD8C68 85A2714C
	v_mfma_scale_f32_16x16x128_f8f6f4 a[108:111], v[76:79], v[60:63], a[108:111], v140, v139 op_sel_hi:[0,0,0] cbsz:4 blgp:4// 00000000502C: D3AC7800 0003178C D3AD8C6C 85B2794C
	v_mfma_scale_f32_16x16x128_f8f6f4 a[96:99], v[80:83], v[64:67], a[96:99], v140, v139 op_sel_hi:[0,0,0] cbsz:4 blgp:4// 00000000503C: D3AC6000 1803178C D3AD8C60 85828150
	v_mfma_scale_f32_16x16x128_f8f6f4 a[100:103], v[80:83], v[68:71], a[100:103], v140, v139 op_sel_hi:[0,0,0] cbsz:4 blgp:4// 00000000504C: D3AC7000 1803178C D3AD8C64 85928950
	v_mfma_scale_f32_16x16x128_f8f6f4 a[104:107], v[84:87], v[64:67], a[104:107], v140, v139 op_sel_hi:[0,0,0] cbsz:4 blgp:4// 00000000505C: D3AC6800 1803178C D3AD8C68 85A28154
	v_mfma_scale_f32_16x16x128_f8f6f4 a[108:111], v[84:87], v[68:71], a[108:111], v140, v139 op_sel_hi:[0,0,0] cbsz:4 blgp:4// 00000000506C: D3AC7800 1803178C D3AD8C6C 85B28954
	s_waitcnt vmcnt(17)                                        // 00000000507C: BF8C4F71
	v_mfma_scale_f32_16x16x128_f8f6f4 a[16:19], v[88:91], v[8:11], a[16:19], v141, v136 op_sel_hi:[0,0,0] cbsz:4 blgp:4// 000000005080: D3AC6000 0003118D D3AD8C10 84421158
	s_add_u32 m0, 0x9480, s64                                  // 000000005090: 807C40FF 00009480
	buffer_load_dwordx4 v145, s[12:15], 0 offen lds            // 000000005098: E05D1000 80030091
	v_mfma_scale_f32_16x16x128_f8f6f4 a[20:23], v[88:91], v[12:15], a[20:23], v141, v136 op_sel_hi:[0,0,0] cbsz:4 blgp:4// 0000000050A0: D3AC7000 0003118D D3AD8C14 84521958
	v_mfma_scale_f32_16x16x128_f8f6f4 a[24:27], v[92:95], v[8:11], a[24:27], v141, v136 op_sel_hi:[0,0,0] cbsz:4 blgp:4// 0000000050B0: D3AC6800 0003118D D3AD8C18 8462115C
	v_mfma_scale_f32_16x16x128_f8f6f4 a[28:31], v[92:95], v[12:15], a[28:31], v141, v136 op_sel_hi:[0,0,0] cbsz:4 blgp:4// 0000000050C0: D3AC7800 0003118D D3AD8C1C 8472195C
	v_mfma_scale_f32_16x16x128_f8f6f4 a[16:19], v[96:99], v[16:19], a[16:19], v141, v136 op_sel_hi:[0,0,0] cbsz:4 blgp:4// 0000000050D0: D3AC6000 1803118D D3AD8C10 84422160
	s_add_u32 m0, 0xa500, s64                                  // 0000000050E0: 807C40FF 0000A500
	buffer_load_dwordx4 v146, s[12:15], 0 offen lds            // 0000000050E8: E05D1000 80030092
	v_mfma_scale_f32_16x16x128_f8f6f4 a[20:23], v[96:99], v[20:23], a[20:23], v141, v136 op_sel_hi:[0,0,0] cbsz:4 blgp:4// 0000000050F0: D3AC7000 1803118D D3AD8C14 84522960
	v_mfma_scale_f32_16x16x128_f8f6f4 a[24:27], v[100:103], v[16:19], a[24:27], v141, v136 op_sel_hi:[0,0,0] cbsz:4 blgp:4// 000000005100: D3AC6800 1803118D D3AD8C18 84622164
	v_mfma_scale_f32_16x16x128_f8f6f4 a[28:31], v[100:103], v[20:23], a[28:31], v141, v136 op_sel_hi:[0,0,0] cbsz:4 blgp:4// 000000005110: D3AC7800 1803118D D3AD8C1C 84722964
	v_mfma_scale_f32_16x16x128_f8f6f4 a[48:51], v[88:91], v[24:27], a[48:51], v141, v137 op_sel_hi:[0,0,0] cbsz:4 blgp:4// 000000005120: D3AC6000 0003138D D3AD8C30 84C23158
	s_add_u32 m0, 0xb580, s64                                  // 000000005130: 807C40FF 0000B580
	buffer_load_dwordx4 v147, s[12:15], 0 offen lds            // 000000005138: E05D1000 80030093
	v_mfma_scale_f32_16x16x128_f8f6f4 a[52:55], v[88:91], v[28:31], a[52:55], v141, v137 op_sel_hi:[0,0,0] cbsz:4 blgp:4// 000000005140: D3AC7000 0003138D D3AD8C34 84D23958
	s_add_u32 s62, 0x300, s60                                  // 000000005150: 803E3CFF 00000300
	s_cmp_lt_u32 s62, s61                                      // 000000005158: BF0A3D3E
	v_mfma_scale_f32_16x16x128_f8f6f4 a[56:59], v[92:95], v[24:27], a[56:59], v141, v137 op_sel_hi:[0,0,0] cbsz:4 blgp:4// 00000000515C: D3AC6800 0003138D D3AD8C38 84E2315C
	s_cselect_b32 s66, s66, 0                                  // 00000000516C: 85428042
	s_cselect_b32 s68, s68, 0                                  // 000000005170: 85448044
	v_mfma_scale_f32_16x16x128_f8f6f4 a[60:63], v[92:95], v[28:31], a[60:63], v141, v137 op_sel_hi:[0,0,0] cbsz:4 blgp:4// 000000005174: D3AC7800 0003138D D3AD8C3C 84F2395C
	s_add_u32 s12, s12, s66                                    // 000000005184: 800C420C
	s_addc_u32 s13, 0, s13                                     // 000000005188: 820D0D80
	v_mfma_scale_f32_16x16x128_f8f6f4 a[48:51], v[96:99], v[32:35], a[48:51], v141, v137 op_sel_hi:[0,0,0] cbsz:4 blgp:4// 00000000518C: D3AC6000 1803138D D3AD8C30 84C24160
	s_sub_u32 s14, s14, s66                                    // 00000000519C: 808E420E
	buffer_load_dwordx4 v[72:75], v154, s[16:19], 0 offen      // 0000000051A0: E05C1000 8004489A
	v_mfma_scale_f32_16x16x128_f8f6f4 a[52:55], v[96:99], v[36:39], a[52:55], v141, v137 op_sel_hi:[0,0,0] cbsz:4 blgp:4// 0000000051A8: D3AC7000 1803138D D3AD8C34 84D24960
	s_add_u32 s20, s20, s68                                    // 0000000051B8: 80144414
	s_addc_u32 s21, 0, s21                                     // 0000000051BC: 82151580
	v_mfma_scale_f32_16x16x128_f8f6f4 a[56:59], v[100:103], v[32:35], a[56:59], v141, v137 op_sel_hi:[0,0,0] cbsz:4 blgp:4// 0000000051C0: D3AC6800 1803138D D3AD8C38 84E24164
	s_sub_u32 s22, s22, s68                                    // 0000000051D0: 80964416
	s_addk_i32 s60, 0x100                                      // 0000000051D4: B73C0100
	v_mfma_scale_f32_16x16x128_f8f6f4 a[60:63], v[100:103], v[36:39], a[60:63], v141, v137 op_sel_hi:[0,0,0] cbsz:4 blgp:4// 0000000051D8: D3AC7800 1803138D D3AD8C3C 84F24964
	s_cmp_lt_i32 s60, s61                                      // 0000000051E8: BF043D3C
	s_waitcnt vmcnt(18)                                        // 0000000051EC: BF8C4F72
	s_barrier                                                  // 0000000051F0: BF8A0000
	v_mfma_scale_f32_16x16x128_f8f6f4 a[80:83], v[88:91], v[40:43], a[80:83], v141, v138 op_sel_hi:[0,0,0] cbsz:4 blgp:4// 0000000051F4: D3AC6000 0003158D D3AD8C50 85425158
	buffer_load_dwordx4 v[76:79], v155, s[16:19], 0 offen      // 000000005204: E05C1000 80044C9B
	v_mfma_scale_f32_16x16x128_f8f6f4 a[84:87], v[88:91], v[44:47], a[84:87], v141, v138 op_sel_hi:[0,0,0] cbsz:4 blgp:4// 00000000520C: D3AC7000 0003158D D3AD8C54 85525958
	ds_read_b128 v[8:11], v149                                 // 00000000521C: D9FE0000 08000095
	v_mfma_scale_f32_16x16x128_f8f6f4 a[88:91], v[92:95], v[40:43], a[88:91], v141, v138 op_sel_hi:[0,0,0] cbsz:4 blgp:4// 000000005224: D3AC6800 0003158D D3AD8C58 8562515C
	v_mfma_scale_f32_16x16x128_f8f6f4 a[92:95], v[92:95], v[44:47], a[92:95], v141, v138 op_sel_hi:[0,0,0] cbsz:4 blgp:4// 000000005234: D3AC7800 0003158D D3AD8C5C 8572595C
	ds_read_b128 v[16:19], v149 offset:64                      // 000000005244: D9FE0040 10000095
	v_mfma_scale_f32_16x16x128_f8f6f4 a[80:83], v[96:99], v[48:51], a[80:83], v141, v138 op_sel_hi:[0,0,0] cbsz:4 blgp:4// 00000000524C: D3AC6000 1803158D D3AD8C50 85426160
	buffer_load_dwordx4 v[80:83], v154, s[16:19], 0 offen offset:1024// 00000000525C: E05C1400 8004509A
	v_mfma_scale_f32_16x16x128_f8f6f4 a[84:87], v[96:99], v[52:55], a[84:87], v141, v138 op_sel_hi:[0,0,0] cbsz:4 blgp:4// 000000005264: D3AC5000 1803158D D3AD8C54 85526960
	ds_read_b128 v[12:15], v149 offset:512                     // 000000005274: D9FE0200 0C000095
	v_mfma_scale_f32_16x16x128_f8f6f4 a[88:91], v[100:103], v[48:51], a[88:91], v141, v138 op_sel_hi:[0,0,0] cbsz:4 blgp:4// 00000000527C: D3AC6800 1803158D D3AD8C58 85626164
	v_mfma_scale_f32_16x16x128_f8f6f4 a[92:95], v[100:103], v[52:55], a[92:95], v141, v138 op_sel_hi:[0,0,0] cbsz:4 blgp:4// 00000000528C: D3AC7800 1803158D D3AD8C5C 85726964
	ds_read_b128 v[20:23], v149 offset:576                     // 00000000529C: D9FE0240 14000095
	ds_read_b32 v136, v153 offset:1024                         // 0000000052A4: D86C0400 88000099
	v_mfma_scale_f32_16x16x128_f8f6f4 a[112:115], v[88:91], v[56:59], a[112:115], v141, v139 op_sel_hi:[0,0,0] cbsz:4 blgp:4// 0000000052AC: D3AC0000 0003178D D3AD8C70 85C27158
	buffer_load_dwordx4 v[84:87], v155, s[16:19], 0 offen offset:1024// 0000000052BC: E05C1400 8004549B
	v_mfma_scale_f32_16x16x128_f8f6f4 a[116:119], v[88:91], v[60:63], a[116:119], v141, v139 op_sel_hi:[0,0,0] cbsz:4 blgp:4// 0000000052C4: D3AC7000 0003178D D3AD8C74 85D27958
	ds_read_b128 v[24:27], v149 offset:4224                    // 0000000052D4: D9FE1080 18000095
	v_mfma_scale_f32_16x16x128_f8f6f4 a[120:123], v[92:95], v[56:59], a[120:123], v141, v139 op_sel_hi:[0,0,0] cbsz:4 blgp:4// 0000000052DC: D3AC6800 0003178D D3AD8C78 85E2715C
	v_mfma_scale_f32_16x16x128_f8f6f4 a[124:127], v[92:95], v[60:63], a[124:127], v141, v139 op_sel_hi:[0,0,0] cbsz:4 blgp:4// 0000000052EC: D3AC7800 0003178D D3AD8C7C 85F2795C
	ds_read_b128 v[32:35], v149 offset:4288                    // 0000000052FC: D9FE10C0 20000095
	v_mfma_scale_f32_16x16x128_f8f6f4 a[112:115], v[96:99], v[64:67], a[112:115], v141, v139 op_sel_hi:[0,0,0] cbsz:4 blgp:4// 000000005304: D3AC6000 1803178D D3AD8C70 85C28160
	buffer_load_dword v140, v158, s[24:27], 0 offen            // 000000005314: E0501000 80068C9E
	v_mfma_scale_f32_16x16x128_f8f6f4 a[116:119], v[96:99], v[68:71], a[116:119], v141, v139 op_sel_hi:[0,0,0] cbsz:4 blgp:4// 00000000531C: D3AC7000 1803178D D3AD8C74 85D28960
	ds_read_b128 v[28:31], v149 offset:4736                    // 00000000532C: D9FE1280 1C000095
	v_mfma_scale_f32_16x16x128_f8f6f4 a[120:123], v[100:103], v[64:67], a[120:123], v141, v139 op_sel_hi:[0,0,0] cbsz:4 blgp:4// 000000005334: D3AC6800 1803178D D3AD8C78 85E28164
	v_mfma_scale_f32_16x16x128_f8f6f4 a[124:127], v[100:103], v[68:71], a[124:127], v141, v139 op_sel_hi:[0,0,0] cbsz:4 blgp:4// 000000005344: D3AC7800 1803178D D3AD8C7C 85F28964
	ds_read_b128 v[36:39], v149 offset:4800                    // 000000005354: D9FE12C0 24000095
	ds_read_b32 v137, v153 offset:1280                         // 00000000535C: D86C0500 89000099
	s_cbranch_scc0 label_0E2C                                  // 000000005364: BF840452
	s_waitcnt vmcnt(15) lgkmcnt(5)                             // 000000005368: BF8C057F
	s_barrier                                                  // 00000000536C: BF8A0000
	v_mfma_scale_f32_16x16x128_f8f6f4 a[0:3], v[104:107], v[8:11], a[0:3], v142, v136 op_sel_hi:[0,0,0] cbsz:4 blgp:4// 000000005370: D3AC6000 0003118E D3AD8C00 84021168
	s_add_u32 s63, 0x200, s60                                  // 000000005380: 803F3CFF 00000200
	buffer_load_dwordx4 v[88:91], v156, s[16:19], 0 offen      // 000000005388: E05C1000 8004589C
	v_mfma_scale_f32_16x16x128_f8f6f4 a[4:7], v[104:107], v[12:15], a[4:7], v142, v136 op_sel_hi:[0,0,0] cbsz:4 blgp:4// 000000005390: D3AC7000 0003118E D3AD8C04 84121968
	s_cmp_lt_u32 s63, s61                                      // 0000000053A0: BF0A3D3F
	ds_read_b128 v[40:43], v149 offset:8448                    // 0000000053A4: D9FE2100 28000095
	v_mfma_scale_f32_16x16x128_f8f6f4 a[8:11], v[108:111], v[8:11], a[8:11], v142, v136 op_sel_hi:[0,0,0] cbsz:4 blgp:4// 0000000053AC: D3AC6800 0003118E D3AD8C08 8422116C
	s_cselect_b32 s67, s67, 0                                  // 0000000053BC: 85438043
	s_cselect_b32 s69, s69, 0                                  // 0000000053C0: 85458045
	v_mfma_scale_f32_16x16x128_f8f6f4 a[12:15], v[108:111], v[12:15], a[12:15], v142, v136 op_sel_hi:[0,0,0] cbsz:4 blgp:4// 0000000053C4: D3AC7800 0003118E D3AD8C0C 8432196C
	ds_read_b128 v[48:51], v149 offset:8512                    // 0000000053D4: D9FE2140 30000095
	v_mfma_scale_f32_16x16x128_f8f6f4 a[0:3], v[112:115], v[16:19], a[0:3], v142, v136 op_sel_hi:[0,0,0] cbsz:4 blgp:4// 0000000053DC: D3AC6000 1803118E D3AD8C00 84022170
	buffer_load_dwordx4 v[92:95], v157, s[16:19], 0 offen      // 0000000053EC: E05C1000 80045C9D
	v_mfma_scale_f32_16x16x128_f8f6f4 a[4:7], v[112:115], v[20:23], a[4:7], v142, v136 op_sel_hi:[0,0,0] cbsz:4 blgp:4// 0000000053F4: D3AC7000 1803118E D3AD8C04 84122970
	ds_read_b128 v[44:47], v149 offset:8960                    // 000000005404: D9FE2300 2C000095
	v_mfma_scale_f32_16x16x128_f8f6f4 a[8:11], v[116:119], v[16:19], a[8:11], v142, v136 op_sel_hi:[0,0,0] cbsz:4 blgp:4// 00000000540C: D3AC6800 1803118E D3AD8C08 84222174
	v_mfma_scale_f32_16x16x128_f8f6f4 a[12:15], v[116:119], v[20:23], a[12:15], v142, v136 op_sel_hi:[0,0,0] cbsz:4 blgp:4// 00000000541C: D3AC7800 1803118E D3AD8C0C 84322974
	ds_read_b128 v[52:55], v149 offset:9024                    // 00000000542C: D9FE2340 34000095
	ds_read_b32 v138, v153 offset:1536                         // 000000005434: D86C0600 8A000099
	s_waitcnt lgkmcnt(5)                                       // 00000000543C: BF8CC57F
	v_mfma_scale_f32_16x16x128_f8f6f4 a[32:35], v[104:107], v[24:27], a[32:35], v142, v137 op_sel_hi:[0,0,0] cbsz:4 blgp:4// 000000005440: D3AC6000 0003138E D3AD8C20 84823168
	buffer_load_dwordx4 v[96:99], v156, s[16:19], 0 offen offset:1024// 000000005450: E05C1400 8004609C
	v_mfma_scale_f32_16x16x128_f8f6f4 a[36:39], v[104:107], v[28:31], a[36:39], v142, v137 op_sel_hi:[0,0,0] cbsz:4 blgp:4// 000000005458: D3AC7000 0003138E D3AD8C24 84923968
	ds_read_b128 v[56:59], v149 offset:12672                   // 000000005468: D9FE3180 38000095
	v_mfma_scale_f32_16x16x128_f8f6f4 a[40:43], v[108:111], v[24:27], a[40:43], v142, v137 op_sel_hi:[0,0,0] cbsz:4 blgp:4// 000000005470: D3AC6800 0003138E D3AD8C28 84A2316C
	v_mfma_scale_f32_16x16x128_f8f6f4 a[44:47], v[108:111], v[28:31], a[44:47], v142, v137 op_sel_hi:[0,0,0] cbsz:4 blgp:4// 000000005480: D3AC7800 0003138E D3AD8C2C 84B2396C
	ds_read_b128 v[64:67], v149 offset:12736                   // 000000005490: D9FE31C0 40000095
	v_mfma_scale_f32_16x16x128_f8f6f4 a[32:35], v[112:115], v[32:35], a[32:35], v142, v137 op_sel_hi:[0,0,0] cbsz:4 blgp:4// 000000005498: D3AC6000 1803138E D3AD8C20 84824170
	buffer_load_dwordx4 v[100:103], v157, s[16:19], 0 offen offset:1024// 0000000054A8: E05C1400 8004649D
	v_mfma_scale_f32_16x16x128_f8f6f4 a[36:39], v[112:115], v[36:39], a[36:39], v142, v137 op_sel_hi:[0,0,0] cbsz:4 blgp:4// 0000000054B0: D3AC7000 1803138E D3AD8C24 84924970
	ds_read_b128 v[60:63], v149 offset:13184                   // 0000000054C0: D9FE3380 3C000095
	v_mfma_scale_f32_16x16x128_f8f6f4 a[40:43], v[116:119], v[32:35], a[40:43], v142, v137 op_sel_hi:[0,0,0] cbsz:4 blgp:4// 0000000054C8: D3AC6800 1803138E D3AD8C28 84A24174
	v_mfma_scale_f32_16x16x128_f8f6f4 a[44:47], v[116:119], v[36:39], a[44:47], v142, v137 op_sel_hi:[0,0,0] cbsz:4 blgp:4// 0000000054D8: D3AC7800 1803138E D3AD8C2C 84B24974
	ds_read_b128 v[68:71], v149 offset:13248                   // 0000000054E8: D9FE33C0 44000095
	ds_read_b32 v139, v153 offset:1792                         // 0000000054F0: D86C0700 8B000099
	s_waitcnt lgkmcnt(5)                                       // 0000000054F8: BF8CC57F
	v_mfma_scale_f32_16x16x128_f8f6f4 a[64:67], v[104:107], v[40:43], a[64:67], v142, v138 op_sel_hi:[0,0,0] cbsz:4 blgp:4// 0000000054FC: D3AC6000 0003158E D3AD8C40 85025168
	buffer_load_dword v141, v159, s[24:27], 0 offen            // 00000000550C: E0501000 80068D9F
	v_mfma_scale_f32_16x16x128_f8f6f4 a[68:71], v[104:107], v[44:47], a[68:71], v142, v138 op_sel_hi:[0,0,0] cbsz:4 blgp:4// 000000005514: D3AC7000 0003158E D3AD8C44 85125968
	s_add_u32 s16, s16, s67                                    // 000000005524: 80104310
	s_addc_u32 s17, 0, s17                                     // 000000005528: 82111180
	v_mfma_scale_f32_16x16x128_f8f6f4 a[72:75], v[108:111], v[40:43], a[72:75], v142, v138 op_sel_hi:[0,0,0] cbsz:4 blgp:4// 00000000552C: D3AC6800 0003158E D3AD8C48 8522516C
	s_sub_u32 s18, s18, s67                                    // 00000000553C: 80924312
	s_add_u32 s24, s24, s69                                    // 000000005540: 80184518
	v_mfma_scale_f32_16x16x128_f8f6f4 a[76:79], v[108:111], v[44:47], a[76:79], v142, v138 op_sel_hi:[0,0,0] cbsz:4 blgp:4// 000000005544: D3AC7800 0003158E D3AD8C4C 8532596C
	s_addc_u32 s25, 0, s25                                     // 000000005554: 82191980
	s_sub_u32 s26, s26, s69                                    // 000000005558: 809A451A
	v_mfma_scale_f32_16x16x128_f8f6f4 a[64:67], v[112:115], v[48:51], a[64:67], v142, v138 op_sel_hi:[0,0,0] cbsz:4 blgp:4// 00000000555C: D3AC6000 1803158E D3AD8C40 85026170
	s_add_u32 m0, 0xc00, s65                                   // 00000000556C: 807C41FF 00000C00
	buffer_load_dword v152, s[20:23], 0 offen lds              // 000000005574: E0511000 80050098
	v_mfma_scale_f32_16x16x128_f8f6f4 a[68:71], v[112:115], v[52:55], a[68:71], v142, v138 op_sel_hi:[0,0,0] cbsz:4 blgp:4// 00000000557C: D3AC7000 1803158E D3AD8C44 85126970
	v_mfma_scale_f32_16x16x128_f8f6f4 a[72:75], v[116:119], v[48:51], a[72:75], v142, v138 op_sel_hi:[0,0,0] cbsz:4 blgp:4// 00000000558C: D3AC6800 1803158E D3AD8C48 85226174
	v_mfma_scale_f32_16x16x128_f8f6f4 a[76:79], v[116:119], v[52:55], a[76:79], v142, v138 op_sel_hi:[0,0,0] cbsz:4 blgp:4// 00000000559C: D3AC7800 1803158E D3AD8C4C 85326974
	s_waitcnt lgkmcnt(0)                                       // 0000000055AC: BF8CC07F
	v_mfma_scale_f32_16x16x128_f8f6f4 a[96:99], v[104:107], v[56:59], a[96:99], v142, v139 op_sel_hi:[0,0,0] cbsz:4 blgp:4// 0000000055B0: D3AC6000 0003178E D3AD8C60 85827168
	s_add_u32 m0, 0xc600, s64                                  // 0000000055C0: 807C40FF 0000C600
	buffer_load_dwordx4 v144, s[12:15], 0 offen lds            // 0000000055C8: E05D1000 80030090
	v_mfma_scale_f32_16x16x128_f8f6f4 a[100:103], v[104:107], v[60:63], a[100:103], v142, v139 op_sel_hi:[0,0,0] cbsz:4 blgp:4// 0000000055D0: D3AC7000 0003178E D3AD8C64 85927968
	v_mfma_scale_f32_16x16x128_f8f6f4 a[104:107], v[108:111], v[56:59], a[104:107], v142, v139 op_sel_hi:[0,0,0] cbsz:4 blgp:4// 0000000055E0: D3AC6800 0003178E D3AD8C68 85A2716C
	v_mfma_scale_f32_16x16x128_f8f6f4 a[108:111], v[108:111], v[60:63], a[108:111], v142, v139 op_sel_hi:[0,0,0] cbsz:4 blgp:4// 0000000055F0: D3AC7800 0003178E D3AD8C6C 85B2796C
	v_mfma_scale_f32_16x16x128_f8f6f4 a[96:99], v[112:115], v[64:67], a[96:99], v142, v139 op_sel_hi:[0,0,0] cbsz:4 blgp:4// 000000005600: D3AC6000 1803178E D3AD8C60 85828170
	v_mfma_scale_f32_16x16x128_f8f6f4 a[100:103], v[112:115], v[68:71], a[100:103], v142, v139 op_sel_hi:[0,0,0] cbsz:4 blgp:4// 000000005610: D3AC7000 1803178E D3AD8C64 85928970
	v_mfma_scale_f32_16x16x128_f8f6f4 a[104:107], v[116:119], v[64:67], a[104:107], v142, v139 op_sel_hi:[0,0,0] cbsz:4 blgp:4// 000000005620: D3AC6800 1803178E D3AD8C68 85A28174
	v_mfma_scale_f32_16x16x128_f8f6f4 a[108:111], v[116:119], v[68:71], a[108:111], v142, v139 op_sel_hi:[0,0,0] cbsz:4 blgp:4// 000000005630: D3AC7800 1803178E D3AD8C6C 85B28974
	s_waitcnt vmcnt(17)                                        // 000000005640: BF8C4F71
	v_mfma_scale_f32_16x16x128_f8f6f4 a[16:19], v[120:123], v[8:11], a[16:19], v143, v136 op_sel_hi:[0,0,0] cbsz:4 blgp:4// 000000005644: D3AC6000 0003118F D3AD8C10 84421178
	s_add_u32 m0, 0xd680, s64                                  // 000000005654: 807C40FF 0000D680
	buffer_load_dwordx4 v145, s[12:15], 0 offen lds            // 00000000565C: E05D1000 80030091
	v_mfma_scale_f32_16x16x128_f8f6f4 a[20:23], v[120:123], v[12:15], a[20:23], v143, v136 op_sel_hi:[0,0,0] cbsz:4 blgp:4// 000000005664: D3AC7000 0003118F D3AD8C14 84521978
	v_mfma_scale_f32_16x16x128_f8f6f4 a[24:27], v[124:127], v[8:11], a[24:27], v143, v136 op_sel_hi:[0,0,0] cbsz:4 blgp:4// 000000005674: D3AC6800 0003118F D3AD8C18 8462117C
	v_mfma_scale_f32_16x16x128_f8f6f4 a[28:31], v[124:127], v[12:15], a[28:31], v143, v136 op_sel_hi:[0,0,0] cbsz:4 blgp:4// 000000005684: D3AC7800 0003118F D3AD8C1C 8472197C
	v_mfma_scale_f32_16x16x128_f8f6f4 a[16:19], v[128:131], v[16:19], a[16:19], v143, v136 op_sel_hi:[0,0,0] cbsz:4 blgp:4// 000000005694: D3AC6000 1803118F D3AD8C10 84422180
	s_add_u32 m0, 0xe700, s64                                  // 0000000056A4: 807C40FF 0000E700
	buffer_load_dwordx4 v146, s[12:15], 0 offen lds            // 0000000056AC: E05D1000 80030092
	v_mfma_scale_f32_16x16x128_f8f6f4 a[20:23], v[128:131], v[20:23], a[20:23], v143, v136 op_sel_hi:[0,0,0] cbsz:4 blgp:4// 0000000056B4: D3AC7000 1803118F D3AD8C14 84522980
	v_mfma_scale_f32_16x16x128_f8f6f4 a[24:27], v[132:135], v[16:19], a[24:27], v143, v136 op_sel_hi:[0,0,0] cbsz:4 blgp:4// 0000000056C4: D3AC6800 1803118F D3AD8C18 84622184
	v_mfma_scale_f32_16x16x128_f8f6f4 a[28:31], v[132:135], v[20:23], a[28:31], v143, v136 op_sel_hi:[0,0,0] cbsz:4 blgp:4// 0000000056D4: D3AC7800 1803118F D3AD8C1C 84722984
	v_mfma_scale_f32_16x16x128_f8f6f4 a[48:51], v[120:123], v[24:27], a[48:51], v143, v137 op_sel_hi:[0,0,0] cbsz:4 blgp:4// 0000000056E4: D3AC6000 0003138F D3AD8C30 84C23178
	s_add_u32 m0, 0xf780, s64                                  // 0000000056F4: 807C40FF 0000F780
	buffer_load_dwordx4 v147, s[12:15], 0 offen lds            // 0000000056FC: E05D1000 80030093
	v_mfma_scale_f32_16x16x128_f8f6f4 a[52:55], v[120:123], v[28:31], a[52:55], v143, v137 op_sel_hi:[0,0,0] cbsz:4 blgp:4// 000000005704: D3AC7000 0003138F D3AD8C34 84D23978
	s_add_u32 s62, 0x300, s60                                  // 000000005714: 803E3CFF 00000300
	s_cmp_lt_u32 s62, s61                                      // 00000000571C: BF0A3D3E
	v_mfma_scale_f32_16x16x128_f8f6f4 a[56:59], v[124:127], v[24:27], a[56:59], v143, v137 op_sel_hi:[0,0,0] cbsz:4 blgp:4// 000000005720: D3AC6800 0003138F D3AD8C38 84E2317C
	s_cselect_b32 s66, s66, 0                                  // 000000005730: 85428042
	s_cselect_b32 s68, s68, 0                                  // 000000005734: 85448044
	v_mfma_scale_f32_16x16x128_f8f6f4 a[60:63], v[124:127], v[28:31], a[60:63], v143, v137 op_sel_hi:[0,0,0] cbsz:4 blgp:4// 000000005738: D3AC7800 0003138F D3AD8C3C 84F2397C
	s_add_u32 s12, s12, s66                                    // 000000005748: 800C420C
	s_addc_u32 s13, 0, s13                                     // 00000000574C: 820D0D80
	v_mfma_scale_f32_16x16x128_f8f6f4 a[48:51], v[128:131], v[32:35], a[48:51], v143, v137 op_sel_hi:[0,0,0] cbsz:4 blgp:4// 000000005750: D3AC6000 1803138F D3AD8C30 84C24180
	s_sub_u32 s14, s14, s66                                    // 000000005760: 808E420E
	buffer_load_dwordx4 v[104:107], v154, s[16:19], 0 offen    // 000000005764: E05C1000 8004689A
	v_mfma_scale_f32_16x16x128_f8f6f4 a[52:55], v[128:131], v[36:39], a[52:55], v143, v137 op_sel_hi:[0,0,0] cbsz:4 blgp:4// 00000000576C: D3AC7000 1803138F D3AD8C34 84D24980
	s_add_u32 s20, s20, s68                                    // 00000000577C: 80144414
	s_addc_u32 s21, 0, s21                                     // 000000005780: 82151580
	v_mfma_scale_f32_16x16x128_f8f6f4 a[56:59], v[132:135], v[32:35], a[56:59], v143, v137 op_sel_hi:[0,0,0] cbsz:4 blgp:4// 000000005784: D3AC6800 1803138F D3AD8C38 84E24184
	s_sub_u32 s22, s22, s68                                    // 000000005794: 80964416
	s_addk_i32 s60, 0x100                                      // 000000005798: B73C0100
	v_mfma_scale_f32_16x16x128_f8f6f4 a[60:63], v[132:135], v[36:39], a[60:63], v143, v137 op_sel_hi:[0,0,0] cbsz:4 blgp:4// 00000000579C: D3AC7800 1803138F D3AD8C3C 84F24984
	s_cmp_lt_i32 s60, s61                                      // 0000000057AC: BF043D3C
	s_waitcnt vmcnt(18)                                        // 0000000057B0: BF8C4F72
	s_barrier                                                  // 0000000057B4: BF8A0000
	v_mfma_scale_f32_16x16x128_f8f6f4 a[80:83], v[120:123], v[40:43], a[80:83], v143, v138 op_sel_hi:[0,0,0] cbsz:4 blgp:4// 0000000057B8: D3AC6000 0003158F D3AD8C50 85425178
	buffer_load_dwordx4 v[108:111], v155, s[16:19], 0 offen    // 0000000057C8: E05C1000 80046C9B
	v_mfma_scale_f32_16x16x128_f8f6f4 a[84:87], v[120:123], v[44:47], a[84:87], v143, v138 op_sel_hi:[0,0,0] cbsz:4 blgp:4// 0000000057D0: D3AC7000 0003158F D3AD8C54 85525978
	ds_read_b128 v[8:11], v150                                 // 0000000057E0: D9FE0000 08000096
	v_mfma_scale_f32_16x16x128_f8f6f4 a[88:91], v[124:127], v[40:43], a[88:91], v143, v138 op_sel_hi:[0,0,0] cbsz:4 blgp:4// 0000000057E8: D3AC6800 0003158F D3AD8C58 8562517C
	v_mfma_scale_f32_16x16x128_f8f6f4 a[92:95], v[124:127], v[44:47], a[92:95], v143, v138 op_sel_hi:[0,0,0] cbsz:4 blgp:4// 0000000057F8: D3AC7800 0003158F D3AD8C5C 8572597C
	ds_read_b128 v[16:19], v150 offset:64                      // 000000005808: D9FE0040 10000096
	v_mfma_scale_f32_16x16x128_f8f6f4 a[80:83], v[128:131], v[48:51], a[80:83], v143, v138 op_sel_hi:[0,0,0] cbsz:4 blgp:4// 000000005810: D3AC6000 1803158F D3AD8C50 85426180
	buffer_load_dwordx4 v[112:115], v154, s[16:19], 0 offen offset:1024// 000000005820: E05C1400 8004709A
	v_mfma_scale_f32_16x16x128_f8f6f4 a[84:87], v[128:131], v[52:55], a[84:87], v143, v138 op_sel_hi:[0,0,0] cbsz:4 blgp:4// 000000005828: D3AC7000 1803158F D3AD8C54 85526980
	ds_read_b128 v[12:15], v150 offset:512                     // 000000005838: D9FE0200 0C000096
	v_mfma_scale_f32_16x16x128_f8f6f4 a[88:91], v[132:135], v[48:51], a[88:91], v143, v138 op_sel_hi:[0,0,0] cbsz:4 blgp:4// 000000005840: D3AC6800 1803158F D3AD8C58 85626184
	v_mfma_scale_f32_16x16x128_f8f6f4 a[92:95], v[132:135], v[52:55], a[92:95], v143, v138 op_sel_hi:[0,0,0] cbsz:4 blgp:4// 000000005850: D3AC7800 1803158F D3AD8C5C 85726984
	ds_read_b128 v[20:23], v150 offset:576                     // 000000005860: D9FE0240 14000096
	ds_read_b32 v136, v153 offset:2048                         // 000000005868: D86C0800 88000099
	v_mfma_scale_f32_16x16x128_f8f6f4 a[112:115], v[120:123], v[56:59], a[112:115], v143, v139 op_sel_hi:[0,0,0] cbsz:4 blgp:4// 000000005870: D3AC6000 0003178F D3AD8C70 85C27178
	buffer_load_dwordx4 v[116:119], v155, s[16:19], 0 offen offset:1024// 000000005880: E05C1400 8004749B
	v_mfma_scale_f32_16x16x128_f8f6f4 a[116:119], v[120:123], v[60:63], a[116:119], v143, v139 op_sel_hi:[0,0,0] cbsz:4 blgp:4// 000000005888: D3AC7000 0003178F D3AD8C74 85D27978
	ds_read_b128 v[24:27], v150 offset:4224                    // 000000005898: D9FE1080 18000096
	v_mfma_scale_f32_16x16x128_f8f6f4 a[120:123], v[124:127], v[56:59], a[120:123], v143, v139 op_sel_hi:[0,0,0] cbsz:4 blgp:4// 0000000058A0: D3AC6800 0003178F D3AD8C78 85E2717C
	v_mfma_scale_f32_16x16x128_f8f6f4 a[124:127], v[124:127], v[60:63], a[124:127], v143, v139 op_sel_hi:[0,0,0] cbsz:4 blgp:4// 0000000058B0: D3AC7800 0003178F D3AD8C7C 85F2797C
	ds_read_b128 v[32:35], v150 offset:4288                    // 0000000058C0: D9FE10C0 20000096
	v_mfma_scale_f32_16x16x128_f8f6f4 a[112:115], v[128:131], v[64:67], a[112:115], v143, v139 op_sel_hi:[0,0,0] cbsz:4 blgp:4// 0000000058C8: D3AC6000 1803178F D3AD8C70 85C28180
	buffer_load_dword v142, v158, s[24:27], 0 offen            // 0000000058D8: E0501000 80068E9E
	v_mfma_scale_f32_16x16x128_f8f6f4 a[116:119], v[128:131], v[68:71], a[116:119], v143, v139 op_sel_hi:[0,0,0] cbsz:4 blgp:4// 0000000058E0: D3AC7000 1803178F D3AD8C74 85D28980
	ds_read_b128 v[28:31], v150 offset:4736                    // 0000000058F0: D9FE1280 1C000096
	v_mfma_scale_f32_16x16x128_f8f6f4 a[120:123], v[132:135], v[64:67], a[120:123], v143, v139 op_sel_hi:[0,0,0] cbsz:4 blgp:4// 0000000058F8: D3AC6800 1803178F D3AD8C78 85E28184
	v_mfma_scale_f32_16x16x128_f8f6f4 a[124:127], v[132:135], v[68:71], a[124:127], v143, v139 op_sel_hi:[0,0,0] cbsz:4 blgp:4// 000000005908: D3AC7800 1803178F D3AD8C7C 85F28984
	ds_read_b128 v[36:39], v150 offset:4800                    // 000000005918: D9FE12C0 24000096
	ds_read_b32 v137, v153 offset:2304                         // 000000005920: D86C0900 89000099
	s_cbranch_scc0 label_0E2C                                  // 000000005928: BF8402E1
	s_waitcnt vmcnt(15) lgkmcnt(5)                             // 00000000592C: BF8C057F
	s_barrier                                                  // 000000005930: BF8A0000
	v_mfma_scale_f32_16x16x128_f8f6f4 a[0:3], v[72:75], v[8:11], a[0:3], v140, v136 op_sel_hi:[0,0,0] cbsz:4 blgp:4// 000000005934: D3AC6000 0003118C D3AD8C00 84021148
	s_add_u32 s63, 0x200, s60                                  // 000000005944: 803F3CFF 00000200
	buffer_load_dwordx4 v[120:123], v156, s[16:19], 0 offen    // 00000000594C: E05C1000 8004789C
	v_mfma_scale_f32_16x16x128_f8f6f4 a[4:7], v[72:75], v[12:15], a[4:7], v140, v136 op_sel_hi:[0,0,0] cbsz:4 blgp:4// 000000005954: D3AC7000 0003118C D3AD8C04 84121948
	s_cmp_lt_u32 s63, s61                                      // 000000005964: BF0A3D3F
	ds_read_b128 v[40:43], v150 offset:8448                    // 000000005968: D9FE2100 28000096
	v_mfma_scale_f32_16x16x128_f8f6f4 a[8:11], v[76:79], v[8:11], a[8:11], v140, v136 op_sel_hi:[0,0,0] cbsz:4 blgp:4// 000000005970: D3AC6800 0003118C D3AD8C08 8422114C
	s_cselect_b32 s67, s67, 0                                  // 000000005980: 85438043
	s_cselect_b32 s69, s69, 0                                  // 000000005984: 85458045
	v_mfma_scale_f32_16x16x128_f8f6f4 a[12:15], v[76:79], v[12:15], a[12:15], v140, v136 op_sel_hi:[0,0,0] cbsz:4 blgp:4// 000000005988: D3AC7800 0003118C D3AD8C0C 8432194C
	ds_read_b128 v[48:51], v150 offset:8512                    // 000000005998: D9FE2140 30000096
	v_mfma_scale_f32_16x16x128_f8f6f4 a[0:3], v[80:83], v[16:19], a[0:3], v140, v136 op_sel_hi:[0,0,0] cbsz:4 blgp:4// 0000000059A0: D3AC6000 1803118C D3AD8C00 84022150
	buffer_load_dwordx4 v[124:127], v157, s[16:19], 0 offen    // 0000000059B0: E05C1000 80047C9D
	v_mfma_scale_f32_16x16x128_f8f6f4 a[4:7], v[80:83], v[20:23], a[4:7], v140, v136 op_sel_hi:[0,0,0] cbsz:4 blgp:4// 0000000059B8: D3AC7000 1803118C D3AD8C04 84122950
	ds_read_b128 v[44:47], v150 offset:8960                    // 0000000059C8: D9FE2300 2C000096
	v_mfma_scale_f32_16x16x128_f8f6f4 a[8:11], v[84:87], v[16:19], a[8:11], v140, v136 op_sel_hi:[0,0,0] cbsz:4 blgp:4// 0000000059D0: D3AC6800 1803118C D3AD8C08 84222154
	v_mfma_scale_f32_16x16x128_f8f6f4 a[12:15], v[84:87], v[20:23], a[12:15], v140, v136 op_sel_hi:[0,0,0] cbsz:4 blgp:4// 0000000059E0: D3AC7800 1803118C D3AD8C0C 84322954
	ds_read_b128 v[52:55], v150 offset:9024                    // 0000000059F0: D9FE2340 34000096
	ds_read_b32 v138, v153 offset:2560                         // 0000000059F8: D86C0A00 8A000099
	s_waitcnt lgkmcnt(5)                                       // 000000005A00: BF8CC57F
	v_mfma_scale_f32_16x16x128_f8f6f4 a[32:35], v[72:75], v[24:27], a[32:35], v140, v137 op_sel_hi:[0,0,0] cbsz:4 blgp:4// 000000005A04: D3AC6000 0003138C D3AD8C20 84823148
	buffer_load_dwordx4 v[128:131], v156, s[16:19], 0 offen offset:1024// 000000005A14: E05C1400 8004809C
	v_mfma_scale_f32_16x16x128_f8f6f4 a[36:39], v[72:75], v[28:31], a[36:39], v140, v137 op_sel_hi:[0,0,0] cbsz:4 blgp:4// 000000005A1C: D3AC7000 0003138C D3AD8C24 84923948
	ds_read_b128 v[56:59], v150 offset:12672                   // 000000005A2C: D9FE3180 38000096
	v_mfma_scale_f32_16x16x128_f8f6f4 a[40:43], v[76:79], v[24:27], a[40:43], v140, v137 op_sel_hi:[0,0,0] cbsz:4 blgp:4// 000000005A34: D3AC6800 0003138C D3AD8C28 84A2314C
	v_mfma_scale_f32_16x16x128_f8f6f4 a[44:47], v[76:79], v[28:31], a[44:47], v140, v137 op_sel_hi:[0,0,0] cbsz:4 blgp:4// 000000005A44: D3AC7800 0003138C D3AD8C2C 84B2394C
	ds_read_b128 v[64:67], v150 offset:12736                   // 000000005A54: D9FE31C0 40000096
	v_mfma_scale_f32_16x16x128_f8f6f4 a[32:35], v[80:83], v[32:35], a[32:35], v140, v137 op_sel_hi:[0,0,0] cbsz:4 blgp:4// 000000005A5C: D3AC6000 1803138C D3AD8C20 84824150
	buffer_load_dwordx4 v[132:135], v157, s[16:19], 0 offen offset:1024// 000000005A6C: E05C1400 8004849D
	v_mfma_scale_f32_16x16x128_f8f6f4 a[36:39], v[80:83], v[36:39], a[36:39], v140, v137 op_sel_hi:[0,0,0] cbsz:4 blgp:4// 000000005A74: D3AC7000 1803138C D3AD8C24 84924950
	ds_read_b128 v[60:63], v150 offset:13184                   // 000000005A84: D9FE3380 3C000096
	v_mfma_scale_f32_16x16x128_f8f6f4 a[40:43], v[84:87], v[32:35], a[40:43], v140, v137 op_sel_hi:[0,0,0] cbsz:4 blgp:4// 000000005A8C: D3AC6800 1803138C D3AD8C28 84A24154
	v_mfma_scale_f32_16x16x128_f8f6f4 a[44:47], v[84:87], v[36:39], a[44:47], v140, v137 op_sel_hi:[0,0,0] cbsz:4 blgp:4// 000000005A9C: D3AC7800 1803138C D3AD8C2C 84B24954
	ds_read_b128 v[68:71], v150 offset:13248                   // 000000005AAC: D9FE33C0 44000096
	ds_read_b32 v139, v153 offset:2816                         // 000000005AB4: D86C0B00 8B000099
	s_waitcnt lgkmcnt(5)                                       // 000000005ABC: BF8CC57F
	v_mfma_scale_f32_16x16x128_f8f6f4 a[64:67], v[72:75], v[40:43], a[64:67], v140, v138 op_sel_hi:[0,0,0] cbsz:4 blgp:4// 000000005AC0: D3AC6000 0003158C D3AD8C40 85025148
	buffer_load_dword v143, v159, s[24:27], 0 offen            // 000000005AD0: E0501000 80068F9F
	v_mfma_scale_f32_16x16x128_f8f6f4 a[68:71], v[72:75], v[44:47], a[68:71], v140, v138 op_sel_hi:[0,0,0] cbsz:4 blgp:4// 000000005AD8: D3AC7000 0003158C D3AD8C44 85125948
	s_add_u32 s16, s16, s67                                    // 000000005AE8: 80104310
	s_addc_u32 s17, 0, s17                                     // 000000005AEC: 82111180
	v_mfma_scale_f32_16x16x128_f8f6f4 a[72:75], v[76:79], v[40:43], a[72:75], v140, v138 op_sel_hi:[0,0,0] cbsz:4 blgp:4// 000000005AF0: D3AC6800 0003158C D3AD8C48 8522514C
	s_sub_u32 s18, s18, s67                                    // 000000005B00: 80924312
	s_add_u32 s24, s24, s69                                    // 000000005B04: 80184518
	v_mfma_scale_f32_16x16x128_f8f6f4 a[76:79], v[76:79], v[44:47], a[76:79], v140, v138 op_sel_hi:[0,0,0] cbsz:4 blgp:4// 000000005B08: D3AC7800 0003158C D3AD8C4C 8532594C
	s_addc_u32 s25, 0, s25                                     // 000000005B18: 82191980
	s_sub_u32 s26, s26, s69                                    // 000000005B1C: 809A451A
	v_mfma_scale_f32_16x16x128_f8f6f4 a[64:67], v[80:83], v[48:51], a[64:67], v140, v138 op_sel_hi:[0,0,0] cbsz:4 blgp:4// 000000005B20: D3AC6000 1803158C D3AD8C40 85026150
	s_add_u32 m0, 0, s65                                       // 000000005B30: 807C4180
	buffer_load_dword v152, s[20:23], 0 offen lds              // 000000005B34: E0511000 80050098
	v_mfma_scale_f32_16x16x128_f8f6f4 a[68:71], v[80:83], v[52:55], a[68:71], v140, v138 op_sel_hi:[0,0,0] cbsz:4 blgp:4// 000000005B3C: D3AC7000 1803158C D3AD8C44 85126950
	v_mfma_scale_f32_16x16x128_f8f6f4 a[72:75], v[84:87], v[48:51], a[72:75], v140, v138 op_sel_hi:[0,0,0] cbsz:4 blgp:4// 000000005B4C: D3AC6800 1803158C D3AD8C48 85226154
	v_mfma_scale_f32_16x16x128_f8f6f4 a[76:79], v[84:87], v[52:55], a[76:79], v140, v138 op_sel_hi:[0,0,0] cbsz:4 blgp:4// 000000005B5C: D3AC7800 1803158C D3AD8C4C 85326954
	s_waitcnt lgkmcnt(0)                                       // 000000005B6C: BF8CC07F
	v_mfma_scale_f32_16x16x128_f8f6f4 a[96:99], v[72:75], v[56:59], a[96:99], v140, v139 op_sel_hi:[0,0,0] cbsz:4 blgp:4// 000000005B70: D3AC6000 0003178C D3AD8C60 85827148
	s_add_u32 m0, 0, s64                                       // 000000005B80: 807C4080
	buffer_load_dwordx4 v144, s[12:15], 0 offen lds            // 000000005B84: E05D1000 80030090
	v_mfma_scale_f32_16x16x128_f8f6f4 a[100:103], v[72:75], v[60:63], a[100:103], v140, v139 op_sel_hi:[0,0,0] cbsz:4 blgp:4// 000000005B8C: D3AC7000 0003178C D3AD8C64 85927948
	v_mfma_scale_f32_16x16x128_f8f6f4 a[104:107], v[76:79], v[56:59], a[104:107], v140, v139 op_sel_hi:[0,0,0] cbsz:4 blgp:4// 000000005B9C: D3AC6800 0003178C D3AD8C68 85A2714C
	v_mfma_scale_f32_16x16x128_f8f6f4 a[108:111], v[76:79], v[60:63], a[108:111], v140, v139 op_sel_hi:[0,0,0] cbsz:4 blgp:4// 000000005BAC: D3AC7800 0003178C D3AD8C6C 85B2794C
	v_mfma_scale_f32_16x16x128_f8f6f4 a[96:99], v[80:83], v[64:67], a[96:99], v140, v139 op_sel_hi:[0,0,0] cbsz:4 blgp:4// 000000005BBC: D3AC6000 1803178C D3AD8C60 85828150
	v_mfma_scale_f32_16x16x128_f8f6f4 a[100:103], v[80:83], v[68:71], a[100:103], v140, v139 op_sel_hi:[0,0,0] cbsz:4 blgp:4// 000000005BCC: D3AC7000 1803178C D3AD8C64 85928950
	v_mfma_scale_f32_16x16x128_f8f6f4 a[104:107], v[84:87], v[64:67], a[104:107], v140, v139 op_sel_hi:[0,0,0] cbsz:4 blgp:4// 000000005BDC: D3AC6800 1803178C D3AD8C68 85A28154
	v_mfma_scale_f32_16x16x128_f8f6f4 a[108:111], v[84:87], v[68:71], a[108:111], v140, v139 op_sel_hi:[0,0,0] cbsz:4 blgp:4// 000000005BEC: D3AC7800 1803178C D3AD8C6C 85B28954
	s_waitcnt vmcnt(17)                                        // 000000005BFC: BF8C4F71
	v_mfma_scale_f32_16x16x128_f8f6f4 a[16:19], v[88:91], v[8:11], a[16:19], v141, v136 op_sel_hi:[0,0,0] cbsz:4 blgp:4// 000000005C00: D3AC6000 0003118D D3AD8C10 84421158
	s_add_u32 m0, 0x1080, s64                                  // 000000005C10: 807C40FF 00001080
	buffer_load_dwordx4 v145, s[12:15], 0 offen lds            // 000000005C18: E05D1000 80030091
	v_mfma_scale_f32_16x16x128_f8f6f4 a[20:23], v[88:91], v[12:15], a[20:23], v141, v136 op_sel_hi:[0,0,0] cbsz:4 blgp:4// 000000005C20: D3AC7000 0003118D D3AD8C14 84521958
	v_mfma_scale_f32_16x16x128_f8f6f4 a[24:27], v[92:95], v[8:11], a[24:27], v141, v136 op_sel_hi:[0,0,0] cbsz:4 blgp:4// 000000005C30: D3AC6800 0003118D D3AD8C18 8462115C
	v_mfma_scale_f32_16x16x128_f8f6f4 a[28:31], v[92:95], v[12:15], a[28:31], v141, v136 op_sel_hi:[0,0,0] cbsz:4 blgp:4// 000000005C40: D3AC7800 0003118D D3AD8C1C 8472195C
	v_mfma_scale_f32_16x16x128_f8f6f4 a[16:19], v[96:99], v[16:19], a[16:19], v141, v136 op_sel_hi:[0,0,0] cbsz:4 blgp:4// 000000005C50: D3AC6000 1803118D D3AD8C10 84422160
	s_add_u32 m0, 0x2100, s64                                  // 000000005C60: 807C40FF 00002100
	buffer_load_dwordx4 v146, s[12:15], 0 offen lds            // 000000005C68: E05D1000 80030092
	v_mfma_scale_f32_16x16x128_f8f6f4 a[20:23], v[96:99], v[20:23], a[20:23], v141, v136 op_sel_hi:[0,0,0] cbsz:4 blgp:4// 000000005C70: D3AC7000 1803118D D3AD8C14 84522960
	v_mfma_scale_f32_16x16x128_f8f6f4 a[24:27], v[100:103], v[16:19], a[24:27], v141, v136 op_sel_hi:[0,0,0] cbsz:4 blgp:4// 000000005C80: D3AC6800 1803118D D3AD8C18 84622164
	v_mfma_scale_f32_16x16x128_f8f6f4 a[28:31], v[100:103], v[20:23], a[28:31], v141, v136 op_sel_hi:[0,0,0] cbsz:4 blgp:4// 000000005C90: D3AC7800 1803118D D3AD8C1C 84722964
	v_mfma_scale_f32_16x16x128_f8f6f4 a[48:51], v[88:91], v[24:27], a[48:51], v141, v137 op_sel_hi:[0,0,0] cbsz:4 blgp:4// 000000005CA0: D3AC6000 0003138D D3AD8C30 84C23158
	s_add_u32 m0, 0x3180, s64                                  // 000000005CB0: 807C40FF 00003180
	buffer_load_dwordx4 v147, s[12:15], 0 offen lds            // 000000005CB8: E05D1000 80030093
	v_mfma_scale_f32_16x16x128_f8f6f4 a[52:55], v[88:91], v[28:31], a[52:55], v141, v137 op_sel_hi:[0,0,0] cbsz:4 blgp:4// 000000005CC0: D3AC7000 0003138D D3AD8C34 84D23958
	s_add_u32 s62, 0x300, s60                                  // 000000005CD0: 803E3CFF 00000300
	s_cmp_lt_u32 s62, s61                                      // 000000005CD8: BF0A3D3E
	v_mfma_scale_f32_16x16x128_f8f6f4 a[56:59], v[92:95], v[24:27], a[56:59], v141, v137 op_sel_hi:[0,0,0] cbsz:4 blgp:4// 000000005CDC: D3AC6800 0003138D D3AD8C38 84E2315C
	s_cselect_b32 s66, s66, 0                                  // 000000005CEC: 85428042
	s_cselect_b32 s68, s68, 0                                  // 000000005CF0: 85448044
	v_mfma_scale_f32_16x16x128_f8f6f4 a[60:63], v[92:95], v[28:31], a[60:63], v141, v137 op_sel_hi:[0,0,0] cbsz:4 blgp:4// 000000005CF4: D3AC7800 0003138D D3AD8C3C 84F2395C
	s_add_u32 s12, s12, s66                                    // 000000005D04: 800C420C
	s_addc_u32 s13, 0, s13                                     // 000000005D08: 820D0D80
	v_mfma_scale_f32_16x16x128_f8f6f4 a[48:51], v[96:99], v[32:35], a[48:51], v141, v137 op_sel_hi:[0,0,0] cbsz:4 blgp:4// 000000005D0C: D3AC6000 1803138D D3AD8C30 84C24160
	s_sub_u32 s14, s14, s66                                    // 000000005D1C: 808E420E
	buffer_load_dwordx4 v[72:75], v154, s[16:19], 0 offen      // 000000005D20: E05C1000 8004489A
	v_mfma_scale_f32_16x16x128_f8f6f4 a[52:55], v[96:99], v[36:39], a[52:55], v141, v137 op_sel_hi:[0,0,0] cbsz:4 blgp:4// 000000005D28: D3AC7000 1803138D D3AD8C34 84D24960
	s_add_u32 s20, s20, s68                                    // 000000005D38: 80144414
	s_addc_u32 s21, 0, s21                                     // 000000005D3C: 82151580
	v_mfma_scale_f32_16x16x128_f8f6f4 a[56:59], v[100:103], v[32:35], a[56:59], v141, v137 op_sel_hi:[0,0,0] cbsz:4 blgp:4// 000000005D40: D3AC6800 1803138D D3AD8C38 84E24164
	s_sub_u32 s22, s22, s68                                    // 000000005D50: 80964416
	s_addk_i32 s60, 0x100                                      // 000000005D54: B73C0100
	v_mfma_scale_f32_16x16x128_f8f6f4 a[60:63], v[100:103], v[36:39], a[60:63], v141, v137 op_sel_hi:[0,0,0] cbsz:4 blgp:4// 000000005D58: D3AC7800 1803138D D3AD8C3C 84F24964
	s_cmp_lt_i32 s60, s61                                      // 000000005D68: BF043D3C
	s_waitcnt vmcnt(18)                                        // 000000005D6C: BF8C4F72
	s_barrier                                                  // 000000005D70: BF8A0000
	v_mfma_scale_f32_16x16x128_f8f6f4 a[80:83], v[88:91], v[40:43], a[80:83], v141, v138 op_sel_hi:[0,0,0] cbsz:4 blgp:4// 000000005D74: D3AC6000 0003158D D3AD8C50 85425158
	buffer_load_dwordx4 v[76:79], v155, s[16:19], 0 offen      // 000000005D84: E05C1000 80044C9B
	v_mfma_scale_f32_16x16x128_f8f6f4 a[84:87], v[88:91], v[44:47], a[84:87], v141, v138 op_sel_hi:[0,0,0] cbsz:4 blgp:4// 000000005D8C: D3AC7000 0003158D D3AD8C54 85525958
	ds_read_b128 v[8:11], v151                                 // 000000005D9C: D9FE0000 08000097
	v_mfma_scale_f32_16x16x128_f8f6f4 a[88:91], v[92:95], v[40:43], a[88:91], v141, v138 op_sel_hi:[0,0,0] cbsz:4 blgp:4// 000000005DA4: D3AC6800 0003158D D3AD8C58 8562515C
	v_mfma_scale_f32_16x16x128_f8f6f4 a[92:95], v[92:95], v[44:47], a[92:95], v141, v138 op_sel_hi:[0,0,0] cbsz:4 blgp:4// 000000005DB4: D3AC7800 0003158D D3AD8C5C 8572595C
	ds_read_b128 v[16:19], v151 offset:64                      // 000000005DC4: D9FE0040 10000097
	v_mfma_scale_f32_16x16x128_f8f6f4 a[80:83], v[96:99], v[48:51], a[80:83], v141, v138 op_sel_hi:[0,0,0] cbsz:4 blgp:4// 000000005DCC: D3AC6000 1803158D D3AD8C50 85426160
	buffer_load_dwordx4 v[80:83], v154, s[16:19], 0 offen offset:1024// 000000005DDC: E05C1400 8004509A
	v_mfma_scale_f32_16x16x128_f8f6f4 a[84:87], v[96:99], v[52:55], a[84:87], v141, v138 op_sel_hi:[0,0,0] cbsz:4 blgp:4// 000000005DE4: D3AC7000 1803158D D3AD8C54 85526960
	ds_read_b128 v[12:15], v151 offset:512                     // 000000005DF4: D9FE0200 0C000097
	v_mfma_scale_f32_16x16x128_f8f6f4 a[88:91], v[100:103], v[48:51], a[88:91], v141, v138 op_sel_hi:[0,0,0] cbsz:4 blgp:4// 000000005DFC: D3AC6800 1803158D D3AD8C58 85626164
	v_mfma_scale_f32_16x16x128_f8f6f4 a[92:95], v[100:103], v[52:55], a[92:95], v141, v138 op_sel_hi:[0,0,0] cbsz:4 blgp:4// 000000005E0C: D3AC7800 1803158D D3AD8C5C 85726964
	ds_read_b128 v[20:23], v151 offset:576                     // 000000005E1C: D9FE0240 14000097
	ds_read_b32 v136, v153 offset:3072                         // 000000005E24: D86C0C00 88000099
	v_mfma_scale_f32_16x16x128_f8f6f4 a[112:115], v[88:91], v[56:59], a[112:115], v141, v139 op_sel_hi:[0,0,0] cbsz:4 blgp:4// 000000005E2C: D3AC6000 0003178D D3AD8C70 85C27158
	buffer_load_dwordx4 v[84:87], v155, s[16:19], 0 offen offset:1024// 000000005E3C: E05C1400 8004549B
	v_mfma_scale_f32_16x16x128_f8f6f4 a[116:119], v[88:91], v[60:63], a[116:119], v141, v139 op_sel_hi:[0,0,0] cbsz:4 blgp:4// 000000005E44: D3AC7000 0003178D D3AD8C74 85D27958
	ds_read_b128 v[24:27], v151 offset:4224                    // 000000005E54: D9FE1080 18000097
	v_mfma_scale_f32_16x16x128_f8f6f4 a[120:123], v[92:95], v[56:59], a[120:123], v141, v139 op_sel_hi:[0,0,0] cbsz:4 blgp:4// 000000005E5C: D3AC6800 0003178D D3AD8C78 85E2715C
	v_mfma_scale_f32_16x16x128_f8f6f4 a[124:127], v[92:95], v[60:63], a[124:127], v141, v139 op_sel_hi:[0,0,0] cbsz:4 blgp:4// 000000005E6C: D3AC7800 0003178D D3AD8C7C 85F2795C
	ds_read_b128 v[32:35], v151 offset:4288                    // 000000005E7C: D9FE10C0 20000097
	v_mfma_scale_f32_16x16x128_f8f6f4 a[112:115], v[96:99], v[64:67], a[112:115], v141, v139 op_sel_hi:[0,0,0] cbsz:4 blgp:4// 000000005E84: D3AC6000 1803178D D3AD8C70 85C28160
	buffer_load_dword v140, v158, s[24:27], 0 offen            // 000000005E94: E0501000 80068C9E
	v_mfma_scale_f32_16x16x128_f8f6f4 a[116:119], v[96:99], v[68:71], a[116:119], v141, v139 op_sel_hi:[0,0,0] cbsz:4 blgp:4// 000000005E9C: D3AC7000 1803178D D3AD8C74 85D28960
	ds_read_b128 v[28:31], v151 offset:4736                    // 000000005EAC: D9FE1280 1C000097
	v_mfma_scale_f32_16x16x128_f8f6f4 a[120:123], v[100:103], v[64:67], a[120:123], v141, v139 op_sel_hi:[0,0,0] cbsz:4 blgp:4// 000000005EB4: D3AC6800 1803178D D3AD8C78 85E28164
	v_mfma_scale_f32_16x16x128_f8f6f4 a[124:127], v[100:103], v[68:71], a[124:127], v141, v139 op_sel_hi:[0,0,0] cbsz:4 blgp:4// 000000005EC4: D3AC7800 1803178D D3AD8C7C 85F28964
	ds_read_b128 v[36:39], v151 offset:4800                    // 000000005ED4: D9FE12C0 24000097
	ds_read_b32 v137, v153 offset:3328                         // 000000005EDC: D86C0D00 89000099
	s_cbranch_scc0 label_0E2C                                  // 000000005EE4: BF840172
	s_waitcnt vmcnt(15) lgkmcnt(5)                             // 000000005EE8: BF8C057F
	s_barrier                                                  // 000000005EEC: BF8A0000
	v_mfma_scale_f32_16x16x128_f8f6f4 a[0:3], v[104:107], v[8:11], a[0:3], v142, v136 op_sel_hi:[0,0,0] cbsz:4 blgp:4// 000000005EF0: D3AC6000 0003118E D3AD8C00 84021168
	s_add_u32 s63, 0x200, s60                                  // 000000005F00: 803F3CFF 00000200
	buffer_load_dwordx4 v[88:91], v156, s[16:19], 0 offen      // 000000005F08: E05C1000 8004589C
	v_mfma_scale_f32_16x16x128_f8f6f4 a[4:7], v[104:107], v[12:15], a[4:7], v142, v136 op_sel_hi:[0,0,0] cbsz:4 blgp:4// 000000005F10: D3AC7000 0003118E D3AD8C04 84121968
	s_cmp_lt_u32 s63, s61                                      // 000000005F20: BF0A3D3F
	ds_read_b128 v[40:43], v151 offset:8448                    // 000000005F24: D9FE2100 28000097
	v_mfma_scale_f32_16x16x128_f8f6f4 a[8:11], v[108:111], v[8:11], a[8:11], v142, v136 op_sel_hi:[0,0,0] cbsz:4 blgp:4// 000000005F2C: D3AC6800 0003118E D3AD8C08 8422116C
	s_cselect_b32 s67, s67, 0                                  // 000000005F3C: 85438043
	s_cselect_b32 s69, s69, 0                                  // 000000005F40: 85458045
	v_mfma_scale_f32_16x16x128_f8f6f4 a[12:15], v[108:111], v[12:15], a[12:15], v142, v136 op_sel_hi:[0,0,0] cbsz:4 blgp:4// 000000005F44: D3AC7800 0003118E D3AD8C0C 8432196C
	ds_read_b128 v[48:51], v151 offset:8512                    // 000000005F54: D9FE2140 30000097
	v_mfma_scale_f32_16x16x128_f8f6f4 a[0:3], v[112:115], v[16:19], a[0:3], v142, v136 op_sel_hi:[0,0,0] cbsz:4 blgp:4// 000000005F5C: D3AC6000 1803118E D3AD8C00 84022170
	buffer_load_dwordx4 v[92:95], v157, s[16:19], 0 offen      // 000000005F6C: E05C1000 80045C9D
	v_mfma_scale_f32_16x16x128_f8f6f4 a[4:7], v[112:115], v[20:23], a[4:7], v142, v136 op_sel_hi:[0,0,0] cbsz:4 blgp:4// 000000005F74: D3AC7000 1803118E D3AD8C04 84122970
	ds_read_b128 v[44:47], v151 offset:8960                    // 000000005F84: D9FE2300 2C000097
	v_mfma_scale_f32_16x16x128_f8f6f4 a[8:11], v[116:119], v[16:19], a[8:11], v142, v136 op_sel_hi:[0,0,0] cbsz:4 blgp:4// 000000005F8C: D3AC6800 1803118E D3AD8C08 84222174
	v_mfma_scale_f32_16x16x128_f8f6f4 a[12:15], v[116:119], v[20:23], a[12:15], v142, v136 op_sel_hi:[0,0,0] cbsz:4 blgp:4// 000000005F9C: D3AC7800 1803118E D3AD8C0C 84322974
	ds_read_b128 v[52:55], v151 offset:9024                    // 000000005FAC: D9FE2340 34000097
	ds_read_b32 v138, v153 offset:3584                         // 000000005FB4: D86C0E00 8A000099
	s_waitcnt lgkmcnt(5)                                       // 000000005FBC: BF8CC57F
	v_mfma_scale_f32_16x16x128_f8f6f4 a[32:35], v[104:107], v[24:27], a[32:35], v142, v137 op_sel_hi:[0,0,0] cbsz:4 blgp:4// 000000005FC0: D3AC6000 0003138E D3AD8C20 84823168
	buffer_load_dwordx4 v[96:99], v156, s[16:19], 0 offen offset:1024// 000000005FD0: E05C1400 8004609C
	v_mfma_scale_f32_16x16x128_f8f6f4 a[36:39], v[104:107], v[28:31], a[36:39], v142, v137 op_sel_hi:[0,0,0] cbsz:4 blgp:4// 000000005FD8: D3AC7000 0003138E D3AD8C24 84923968
	ds_read_b128 v[56:59], v151 offset:12672                   // 000000005FE8: D9FE3180 38000097
	v_mfma_scale_f32_16x16x128_f8f6f4 a[40:43], v[108:111], v[24:27], a[40:43], v142, v137 op_sel_hi:[0,0,0] cbsz:4 blgp:4// 000000005FF0: D3AC6800 0003138E D3AD8C28 84A2316C
	v_mfma_scale_f32_16x16x128_f8f6f4 a[44:47], v[108:111], v[28:31], a[44:47], v142, v137 op_sel_hi:[0,0,0] cbsz:4 blgp:4// 000000006000: D3AC7800 0003138E D3AD8C2C 84B2396C
	ds_read_b128 v[64:67], v151 offset:12736                   // 000000006010: D9FE31C0 40000097
	v_mfma_scale_f32_16x16x128_f8f6f4 a[32:35], v[112:115], v[32:35], a[32:35], v142, v137 op_sel_hi:[0,0,0] cbsz:4 blgp:4// 000000006018: D3AC6000 1803138E D3AD8C20 84824170
	buffer_load_dwordx4 v[100:103], v157, s[16:19], 0 offen offset:1024// 000000006028: E05C1400 8004649D
	v_mfma_scale_f32_16x16x128_f8f6f4 a[36:39], v[112:115], v[36:39], a[36:39], v142, v137 op_sel_hi:[0,0,0] cbsz:4 blgp:4// 000000006030: D3AC7000 1803138E D3AD8C24 84924970
	ds_read_b128 v[60:63], v151 offset:13184                   // 000000006040: D9FE3380 3C000097
	v_mfma_scale_f32_16x16x128_f8f6f4 a[40:43], v[116:119], v[32:35], a[40:43], v142, v137 op_sel_hi:[0,0,0] cbsz:4 blgp:4// 000000006048: D3AC6800 1803138E D3AD8C28 84A24174
	v_mfma_scale_f32_16x16x128_f8f6f4 a[44:47], v[116:119], v[36:39], a[44:47], v142, v137 op_sel_hi:[0,0,0] cbsz:4 blgp:4// 000000006058: D3AC7800 1803138E D3AD8C2C 84B24974
	ds_read_b128 v[68:71], v151 offset:13248                   // 000000006068: D9FE33C0 44000097
	ds_read_b32 v139, v153 offset:3840                         // 000000006070: D86C0F00 8B000099
	s_waitcnt lgkmcnt(5)                                       // 000000006078: BF8CC57F
	v_mfma_scale_f32_16x16x128_f8f6f4 a[64:67], v[104:107], v[40:43], a[64:67], v142, v138 op_sel_hi:[0,0,0] cbsz:4 blgp:4// 00000000607C: D3AC6000 0003158E D3AD8C40 85025168
	buffer_load_dword v141, v159, s[24:27], 0 offen            // 00000000608C: E0501000 80068D9F
	v_mfma_scale_f32_16x16x128_f8f6f4 a[68:71], v[104:107], v[44:47], a[68:71], v142, v138 op_sel_hi:[0,0,0] cbsz:4 blgp:4// 000000006094: D3AC7000 0003158E D3AD8C44 85125968
	s_add_u32 s16, s16, s67                                    // 0000000060A4: 80104310
	s_addc_u32 s17, 0, s17                                     // 0000000060A8: 82111180
	v_mfma_scale_f32_16x16x128_f8f6f4 a[72:75], v[108:111], v[40:43], a[72:75], v142, v138 op_sel_hi:[0,0,0] cbsz:4 blgp:4// 0000000060AC: D3AC6800 0003158E D3AD8C48 8522516C
	s_sub_u32 s18, s18, s67                                    // 0000000060BC: 80924312
	s_add_u32 s24, s24, s69                                    // 0000000060C0: 80184518
	v_mfma_scale_f32_16x16x128_f8f6f4 a[76:79], v[108:111], v[44:47], a[76:79], v142, v138 op_sel_hi:[0,0,0] cbsz:4 blgp:4// 0000000060C4: D3AC7800 0003158E D3AD8C4C 8532596C
	s_addc_u32 s25, 0, s25                                     // 0000000060D4: 82191980
	s_sub_u32 s26, s26, s69                                    // 0000000060D8: 809A451A
	v_mfma_scale_f32_16x16x128_f8f6f4 a[64:67], v[112:115], v[48:51], a[64:67], v142, v138 op_sel_hi:[0,0,0] cbsz:4 blgp:4// 0000000060DC: D3AC6000 1803158E D3AD8C40 85026170
	s_add_u32 m0, 0x400, s65                                   // 0000000060EC: 807C41FF 00000400
	buffer_load_dword v152, s[20:23], 0 offen lds              // 0000000060F4: E0511000 80050098
	v_mfma_scale_f32_16x16x128_f8f6f4 a[68:71], v[112:115], v[52:55], a[68:71], v142, v138 op_sel_hi:[0,0,0] cbsz:4 blgp:4// 0000000060FC: D3AC7000 1803158E D3AD8C44 85126970
	v_mfma_scale_f32_16x16x128_f8f6f4 a[72:75], v[116:119], v[48:51], a[72:75], v142, v138 op_sel_hi:[0,0,0] cbsz:4 blgp:4// 00000000610C: D3AC6800 1803158E D3AD8C48 85226174
	v_mfma_scale_f32_16x16x128_f8f6f4 a[76:79], v[116:119], v[52:55], a[76:79], v142, v138 op_sel_hi:[0,0,0] cbsz:4 blgp:4// 00000000611C: D3AC7800 1803158E D3AD8C4C 85326974
	s_waitcnt lgkmcnt(0)                                       // 00000000612C: BF8CC07F
	v_mfma_scale_f32_16x16x128_f8f6f4 a[96:99], v[104:107], v[56:59], a[96:99], v142, v139 op_sel_hi:[0,0,0] cbsz:4 blgp:4// 000000006130: D3AC6000 0003178E D3AD8C60 85827168
	s_add_u32 m0, 0x4200, s64                                  // 000000006140: 807C40FF 00004200
	buffer_load_dwordx4 v144, s[12:15], 0 offen lds            // 000000006148: E05D1000 80030090
	v_mfma_scale_f32_16x16x128_f8f6f4 a[100:103], v[104:107], v[60:63], a[100:103], v142, v139 op_sel_hi:[0,0,0] cbsz:4 blgp:4// 000000006150: D3AC7000 0003178E D3AD8C64 85927968
	v_mfma_scale_f32_16x16x128_f8f6f4 a[104:107], v[108:111], v[56:59], a[104:107], v142, v139 op_sel_hi:[0,0,0] cbsz:4 blgp:4// 000000006160: D3AC6800 0003178E D3AD8C68 85A2716C
	v_mfma_scale_f32_16x16x128_f8f6f4 a[108:111], v[108:111], v[60:63], a[108:111], v142, v139 op_sel_hi:[0,0,0] cbsz:4 blgp:4// 000000006170: D3AC7800 0003178E D3AD8C6C 85B2796C
	v_mfma_scale_f32_16x16x128_f8f6f4 a[96:99], v[112:115], v[64:67], a[96:99], v142, v139 op_sel_hi:[0,0,0] cbsz:4 blgp:4// 000000006180: D3AC6000 1803178E D3AD8C60 85828170
	v_mfma_scale_f32_16x16x128_f8f6f4 a[100:103], v[112:115], v[68:71], a[100:103], v142, v139 op_sel_hi:[0,0,0] cbsz:4 blgp:4// 000000006190: D3AC7000 1803178E D3AD8C64 85928970
	v_mfma_scale_f32_16x16x128_f8f6f4 a[104:107], v[116:119], v[64:67], a[104:107], v142, v139 op_sel_hi:[0,0,0] cbsz:4 blgp:4// 0000000061A0: D3AC6800 1803178E D3AD8C68 85A28174
	v_mfma_scale_f32_16x16x128_f8f6f4 a[108:111], v[116:119], v[68:71], a[108:111], v142, v139 op_sel_hi:[0,0,0] cbsz:4 blgp:4// 0000000061B0: D3AC7800 1803178E D3AD8C6C 85B28974
	s_waitcnt vmcnt(17)                                        // 0000000061C0: BF8C4F71
	v_mfma_scale_f32_16x16x128_f8f6f4 a[16:19], v[120:123], v[8:11], a[16:19], v143, v136 op_sel_hi:[0,0,0] cbsz:4 blgp:4// 0000000061C4: D3AC6000 0003118F D3AD8C10 84421178
	s_add_u32 m0, 0x5280, s64                                  // 0000000061D4: 807C40FF 00005280
	buffer_load_dwordx4 v145, s[12:15], 0 offen lds            // 0000000061DC: E05D1000 80030091
	v_mfma_scale_f32_16x16x128_f8f6f4 a[20:23], v[120:123], v[12:15], a[20:23], v143, v136 op_sel_hi:[0,0,0] cbsz:4 blgp:4// 0000000061E4: D3AC7000 0003118F D3AD8C14 84521978
	v_mfma_scale_f32_16x16x128_f8f6f4 a[24:27], v[124:127], v[8:11], a[24:27], v143, v136 op_sel_hi:[0,0,0] cbsz:4 blgp:4// 0000000061F4: D3AC6800 0003118F D3AD8C18 8462117C
	v_mfma_scale_f32_16x16x128_f8f6f4 a[28:31], v[124:127], v[12:15], a[28:31], v143, v136 op_sel_hi:[0,0,0] cbsz:4 blgp:4// 000000006204: D3AC7800 0003118F D3AD8C1C 8472197C
	v_mfma_scale_f32_16x16x128_f8f6f4 a[16:19], v[128:131], v[16:19], a[16:19], v143, v136 op_sel_hi:[0,0,0] cbsz:4 blgp:4// 000000006214: D3AC6000 1803118F D3AD8C10 84422180
	s_add_u32 m0, 0x6300, s64                                  // 000000006224: 807C40FF 00006300
	buffer_load_dwordx4 v146, s[12:15], 0 offen lds            // 00000000622C: E05D1000 80030092
	v_mfma_scale_f32_16x16x128_f8f6f4 a[20:23], v[128:131], v[20:23], a[20:23], v143, v136 op_sel_hi:[0,0,0] cbsz:4 blgp:4// 000000006234: D3AC7000 1803118F D3AD8C14 84522980
	v_mfma_scale_f32_16x16x128_f8f6f4 a[24:27], v[132:135], v[16:19], a[24:27], v143, v136 op_sel_hi:[0,0,0] cbsz:4 blgp:4// 000000006244: D3AC6800 1803118F D3AD8C18 84622184
	v_mfma_scale_f32_16x16x128_f8f6f4 a[28:31], v[132:135], v[20:23], a[28:31], v143, v136 op_sel_hi:[0,0,0] cbsz:4 blgp:4// 000000006254: D3AC7800 1803118F D3AD8C1C 84722984
	v_mfma_scale_f32_16x16x128_f8f6f4 a[48:51], v[120:123], v[24:27], a[48:51], v143, v137 op_sel_hi:[0,0,0] cbsz:4 blgp:4// 000000006264: D3AC6000 0003138F D3AD8C30 84C23178
	s_add_u32 m0, 0x7380, s64                                  // 000000006274: 807C40FF 00007380
	buffer_load_dwordx4 v147, s[12:15], 0 offen lds            // 00000000627C: E05D1000 80030093
	v_mfma_scale_f32_16x16x128_f8f6f4 a[52:55], v[120:123], v[28:31], a[52:55], v143, v137 op_sel_hi:[0,0,0] cbsz:4 blgp:4// 000000006284: D3AC7000 0003138F D3AD8C34 84D23978
	s_add_u32 s62, 0x300, s60                                  // 000000006294: 803E3CFF 00000300
	s_cmp_lt_u32 s62, s61                                      // 00000000629C: BF0A3D3E
	v_mfma_scale_f32_16x16x128_f8f6f4 a[56:59], v[124:127], v[24:27], a[56:59], v143, v137 op_sel_hi:[0,0,0] cbsz:4 blgp:4// 0000000062A0: D3AC6800 0003138F D3AD8C38 84E2317C
	s_cselect_b32 s66, s66, 0                                  // 0000000062B0: 85428042
	s_cselect_b32 s68, s68, 0                                  // 0000000062B4: 85448044
	v_mfma_scale_f32_16x16x128_f8f6f4 a[60:63], v[124:127], v[28:31], a[60:63], v143, v137 op_sel_hi:[0,0,0] cbsz:4 blgp:4// 0000000062B8: D3AC7800 0003138F D3AD8C3C 84F2397C
	s_add_u32 s12, s12, s66                                    // 0000000062C8: 800C420C
	s_addc_u32 s13, 0, s13                                     // 0000000062CC: 820D0D80
	v_mfma_scale_f32_16x16x128_f8f6f4 a[48:51], v[128:131], v[32:35], a[48:51], v143, v137 op_sel_hi:[0,0,0] cbsz:4 blgp:4// 0000000062D0: D3AC6000 1803138F D3AD8C30 84C24180
	s_sub_u32 s14, s14, s66                                    // 0000000062E0: 808E420E
	buffer_load_dwordx4 v[104:107], v154, s[16:19], 0 offen    // 0000000062E4: E05C1000 8004689A
	v_mfma_scale_f32_16x16x128_f8f6f4 a[52:55], v[128:131], v[36:39], a[52:55], v143, v137 op_sel_hi:[0,0,0] cbsz:4 blgp:4// 0000000062EC: D3AC7000 1803138F D3AD8C34 84D24980
	s_add_u32 s20, s20, s68                                    // 0000000062FC: 80144414
	s_addc_u32 s21, 0, s21                                     // 000000006300: 82151580
	v_mfma_scale_f32_16x16x128_f8f6f4 a[56:59], v[132:135], v[32:35], a[56:59], v143, v137 op_sel_hi:[0,0,0] cbsz:4 blgp:4// 000000006304: D3AC6800 1803138F D3AD8C38 84E24184
	s_sub_u32 s22, s22, s68                                    // 000000006314: 80964416
	s_addk_i32 s60, 0x100                                      // 000000006318: B73C0100
	v_mfma_scale_f32_16x16x128_f8f6f4 a[60:63], v[132:135], v[36:39], a[60:63], v143, v137 op_sel_hi:[0,0,0] cbsz:4 blgp:4// 00000000631C: D3AC7800 1803138F D3AD8C3C 84F24984
	s_cmp_lt_i32 s60, s61                                      // 00000000632C: BF043D3C
	s_waitcnt vmcnt(18)                                        // 000000006330: BF8C4F72
	s_barrier                                                  // 000000006334: BF8A0000
	v_mfma_scale_f32_16x16x128_f8f6f4 a[80:83], v[120:123], v[40:43], a[80:83], v143, v138 op_sel_hi:[0,0,0] cbsz:4 blgp:4// 000000006338: D3AC6000 0003158F D3AD8C50 85425178
	buffer_load_dwordx4 v[108:111], v155, s[16:19], 0 offen    // 000000006348: E05C1000 80046C9B
	v_mfma_scale_f32_16x16x128_f8f6f4 a[84:87], v[120:123], v[44:47], a[84:87], v143, v138 op_sel_hi:[0,0,0] cbsz:4 blgp:4// 000000006350: D3AC7000 0003158F D3AD8C54 85525978
	ds_read_b128 v[8:11], v148                                 // 000000006360: D9FE0000 08000094
	v_mfma_scale_f32_16x16x128_f8f6f4 a[88:91], v[124:127], v[40:43], a[88:91], v143, v138 op_sel_hi:[0,0,0] cbsz:4 blgp:4// 000000006368: D3AC6800 0003158F D3AD8C58 8562517C
	v_mfma_scale_f32_16x16x128_f8f6f4 a[92:95], v[124:127], v[44:47], a[92:95], v143, v138 op_sel_hi:[0,0,0] cbsz:4 blgp:4// 000000006378: D3AC7800 0003158F D3AD8C5C 8572597C
	ds_read_b128 v[16:19], v148 offset:64                      // 000000006388: D9FE0040 10000094
	v_mfma_scale_f32_16x16x128_f8f6f4 a[80:83], v[128:131], v[48:51], a[80:83], v143, v138 op_sel_hi:[0,0,0] cbsz:4 blgp:4// 000000006390: D3AC6000 1803158F D3AD8C50 85426180
	buffer_load_dwordx4 v[112:115], v154, s[16:19], 0 offen offset:1024// 0000000063A0: E05C1400 8004709A
	v_mfma_scale_f32_16x16x128_f8f6f4 a[84:87], v[128:131], v[52:55], a[84:87], v143, v138 op_sel_hi:[0,0,0] cbsz:4 blgp:4// 0000000063A8: D3AC7000 1803158F D3AD8C54 85526980
	ds_read_b128 v[12:15], v148 offset:512                     // 0000000063B8: D9FE0200 0C000094
	v_mfma_scale_f32_16x16x128_f8f6f4 a[88:91], v[132:135], v[48:51], a[88:91], v143, v138 op_sel_hi:[0,0,0] cbsz:4 blgp:4// 0000000063C0: D3AC6800 1803158F D3AD8C58 85626184
	v_mfma_scale_f32_16x16x128_f8f6f4 a[92:95], v[132:135], v[52:55], a[92:95], v143, v138 op_sel_hi:[0,0,0] cbsz:4 blgp:4// 0000000063D0: D3AC7800 1803158F D3AD8C5C 85726984
	ds_read_b128 v[20:23], v148 offset:576                     // 0000000063E0: D9FE0240 14000094
	ds_read_b32 v136, v153                                     // 0000000063E8: D86C0000 88000099
	v_mfma_scale_f32_16x16x128_f8f6f4 a[112:115], v[120:123], v[56:59], a[112:115], v143, v139 op_sel_hi:[0,0,0] cbsz:4 blgp:4// 0000000063F0: D3AC6000 0003178F D3AD8C70 85C27178
	buffer_load_dwordx4 v[116:119], v155, s[16:19], 0 offen offset:1024// 000000006400: E05C1400 8004749B
	v_mfma_scale_f32_16x16x128_f8f6f4 a[116:119], v[120:123], v[60:63], a[116:119], v143, v139 op_sel_hi:[0,0,0] cbsz:4 blgp:4// 000000006408: D3AC7000 0003178F D3AD8C74 85D27978
	ds_read_b128 v[24:27], v148 offset:4224                    // 000000006418: D9FE1080 18000094
	v_mfma_scale_f32_16x16x128_f8f6f4 a[120:123], v[124:127], v[56:59], a[120:123], v143, v139 op_sel_hi:[0,0,0] cbsz:4 blgp:4// 000000006420: D3AC6800 0003178F D3AD8C78 85E2717C
	v_mfma_scale_f32_16x16x128_f8f6f4 a[124:127], v[124:127], v[60:63], a[124:127], v143, v139 op_sel_hi:[0,0,0] cbsz:4 blgp:4// 000000006430: D3AC7800 0003178F D3AD8C7C 85F2797C
	ds_read_b128 v[32:35], v148 offset:4288                    // 000000006440: D9FE10C0 20000094
	v_mfma_scale_f32_16x16x128_f8f6f4 a[112:115], v[128:131], v[64:67], a[112:115], v143, v139 op_sel_hi:[0,0,0] cbsz:4 blgp:4// 000000006448: D3AC6000 1803178F D3AD8C70 85C28180
	buffer_load_dword v142, v158, s[24:27], 0 offen            // 000000006458: E0501000 80068E9E
	v_mfma_scale_f32_16x16x128_f8f6f4 a[116:119], v[128:131], v[68:71], a[116:119], v143, v139 op_sel_hi:[0,0,0] cbsz:4 blgp:4// 000000006460: D3AC7000 1803178F D3AD8C74 85D28980
	ds_read_b128 v[28:31], v148 offset:4736                    // 000000006470: D9FE1280 1C000094
	v_mfma_scale_f32_16x16x128_f8f6f4 a[120:123], v[132:135], v[64:67], a[120:123], v143, v139 op_sel_hi:[0,0,0] cbsz:4 blgp:4// 000000006478: D3AC6800 1803178F D3AD8C78 85E28184
	v_mfma_scale_f32_16x16x128_f8f6f4 a[124:127], v[132:135], v[68:71], a[124:127], v143, v139 op_sel_hi:[0,0,0] cbsz:4 blgp:4// 000000006488: D3AC7800 1803178F D3AD8C7C 85F28984
	ds_read_b128 v[36:39], v148 offset:4800                    // 000000006498: D9FE12C0 24000094
	ds_read_b32 v137, v153 offset:256                          // 0000000064A0: D86C0100 89000099
	s_cbranch_scc0 label_0E2C                                  // 0000000064A8: BF840001
	s_branch label_0869                                        // 0000000064AC: BF82FA3D

00000000000064b0 <label_0E2C>:
	s_waitcnt lgkmcnt(0)                                       // 0000000064B0: BF8CC07F
	s_mul_i32 s62, s47, 0x100                                  // 0000000064B4: 923EFF2F 00000100
	s_mul_i32 s63, s46, 64                                     // 0000000064BC: 923FC02E
	s_add_u32 s60, s62, s63                                    // 0000000064C0: 803C3F3E
	s_add_u32 s62, s60, 64                                     // 0000000064C4: 803EC03C
	s_cmp_lt_i32 s44, s62                                      // 0000000064C8: BF043E2C
	s_cbranch_scc1 label_1038                                  // 0000000064CC: BF850204
	s_mul_i32 s62, s36, 16                                     // 0000000064D0: 923E9024
	v_add_u32_e32 v164, 0, v160                                // 0000000064D4: 69494080
	v_accvgpr_read_b32 v8, a0                                  // 0000000064D8: D3D84008 18000100
	v_accvgpr_read_b32 v9, a1                                  // 0000000064E0: D3D84009 18000101
	v_accvgpr_read_b32 v10, a2                                 // 0000000064E8: D3D8400A 18000102
	v_accvgpr_read_b32 v11, a3                                 // 0000000064F0: D3D8400B 18000103
	v_accvgpr_read_b32 v12, a8                                 // 0000000064F8: D3D8400C 18000108
	v_accvgpr_read_b32 v13, a9                                 // 000000006500: D3D8400D 18000109
	v_accvgpr_read_b32 v14, a10                                // 000000006508: D3D8400E 1800010A
	v_accvgpr_read_b32 v15, a11                                // 000000006510: D3D8400F 1800010B
	v_cvt_pk_bf16_f32 v16, v8, v9                              // 000000006518: D2680010 00021308
	v_cvt_pk_bf16_f32 v17, v10, v11                            // 000000006520: D2680011 0002170A
	v_cvt_pk_bf16_f32 v18, v12, v13                            // 000000006528: D2680012 00021B0C
	v_cvt_pk_bf16_f32 v19, v14, v15                            // 000000006530: D2680013 00021F0E
	s_nop 1                                                    // 000000006538: BF800001
	v_permlane16_swap_b32_e32 v16, v18                         // 00000000653C: 7E20B312
	s_nop 1                                                    // 000000006540: BF800001
	v_permlane16_swap_b32_e32 v17, v19                         // 000000006544: 7E22B313
	s_nop 1                                                    // 000000006548: BF800001
	buffer_store_dwordx4 v[16:19], v164, s[4:7], 0 offen       // 00000000654C: E07C1000 800110A4
	v_add_u32_e32 v164, s62, v164                              // 000000006554: 6949483E
	v_accvgpr_read_b32 v8, a4                                  // 000000006558: D3D84008 18000104
	v_accvgpr_read_b32 v9, a5                                  // 000000006560: D3D84009 18000105
	v_accvgpr_read_b32 v10, a6                                 // 000000006568: D3D8400A 18000106
	v_accvgpr_read_b32 v11, a7                                 // 000000006570: D3D8400B 18000107
	v_accvgpr_read_b32 v12, a12                                // 000000006578: D3D8400C 1800010C
	v_accvgpr_read_b32 v13, a13                                // 000000006580: D3D8400D 1800010D
	v_accvgpr_read_b32 v14, a14                                // 000000006588: D3D8400E 1800010E
	v_accvgpr_read_b32 v15, a15                                // 000000006590: D3D8400F 1800010F
	v_cvt_pk_bf16_f32 v16, v8, v9                              // 000000006598: D2680010 00021308
	v_cvt_pk_bf16_f32 v17, v10, v11                            // 0000000065A0: D2680011 0002170A
	v_cvt_pk_bf16_f32 v18, v12, v13                            // 0000000065A8: D2680012 00021B0C
	v_cvt_pk_bf16_f32 v19, v14, v15                            // 0000000065B0: D2680013 00021F0E
	s_nop 1                                                    // 0000000065B8: BF800001
	v_permlane16_swap_b32_e32 v16, v18                         // 0000000065BC: 7E20B312
	s_nop 1                                                    // 0000000065C0: BF800001
	v_permlane16_swap_b32_e32 v17, v19                         // 0000000065C4: 7E22B313
	s_nop 1                                                    // 0000000065C8: BF800001
	buffer_store_dwordx4 v[16:19], v164, s[4:7], 0 offen       // 0000000065CC: E07C1000 800110A4
	v_add_u32_e32 v164, s62, v164                              // 0000000065D4: 6949483E
	v_accvgpr_read_b32 v8, a32                                 // 0000000065D8: D3D84008 18000120
	v_accvgpr_read_b32 v9, a33                                 // 0000000065E0: D3D84009 18000121
	v_accvgpr_read_b32 v10, a34                                // 0000000065E8: D3D8400A 18000122
	v_accvgpr_read_b32 v11, a35                                // 0000000065F0: D3D8400B 18000123
	v_accvgpr_read_b32 v12, a40                                // 0000000065F8: D3D8400C 18000128
	v_accvgpr_read_b32 v13, a41                                // 000000006600: D3D8400D 18000129
	v_accvgpr_read_b32 v14, a42                                // 000000006608: D3D8400E 1800012A
	v_accvgpr_read_b32 v15, a43                                // 000000006610: D3D8400F 1800012B
	v_cvt_pk_bf16_f32 v16, v8, v9                              // 000000006618: D2680010 00021308
	v_cvt_pk_bf16_f32 v17, v10, v11                            // 000000006620: D2680011 0002170A
	v_cvt_pk_bf16_f32 v18, v12, v13                            // 000000006628: D2680012 00021B0C
	v_cvt_pk_bf16_f32 v19, v14, v15                            // 000000006630: D2680013 00021F0E
	s_nop 1                                                    // 000000006638: BF800001
	v_permlane16_swap_b32_e32 v16, v18                         // 00000000663C: 7E20B312
	s_nop 1                                                    // 000000006640: BF800001
	v_permlane16_swap_b32_e32 v17, v19                         // 000000006644: 7E22B313
	s_nop 1                                                    // 000000006648: BF800001
	buffer_store_dwordx4 v[16:19], v164, s[4:7], 0 offen       // 00000000664C: E07C1000 800110A4
	v_add_u32_e32 v164, s62, v164                              // 000000006654: 6949483E
	v_accvgpr_read_b32 v8, a36                                 // 000000006658: D3D84008 18000124
	v_accvgpr_read_b32 v9, a37                                 // 000000006660: D3D84009 18000125
	v_accvgpr_read_b32 v10, a38                                // 000000006668: D3D8400A 18000126
	v_accvgpr_read_b32 v11, a39                                // 000000006670: D3D8400B 18000127
	v_accvgpr_read_b32 v12, a44                                // 000000006678: D3D8400C 1800012C
	v_accvgpr_read_b32 v13, a45                                // 000000006680: D3D8400D 1800012D
	v_accvgpr_read_b32 v14, a46                                // 000000006688: D3D8400E 1800012E
	v_accvgpr_read_b32 v15, a47                                // 000000006690: D3D8400F 1800012F
	v_cvt_pk_bf16_f32 v16, v8, v9                              // 000000006698: D2680010 00021308
	v_cvt_pk_bf16_f32 v17, v10, v11                            // 0000000066A0: D2680011 0002170A
	v_cvt_pk_bf16_f32 v18, v12, v13                            // 0000000066A8: D2680012 00021B0C
	v_cvt_pk_bf16_f32 v19, v14, v15                            // 0000000066B0: D2680013 00021F0E
	s_nop 1                                                    // 0000000066B8: BF800001
	v_permlane16_swap_b32_e32 v16, v18                         // 0000000066BC: 7E20B312
	s_nop 1                                                    // 0000000066C0: BF800001
	v_permlane16_swap_b32_e32 v17, v19                         // 0000000066C4: 7E22B313
	s_nop 1                                                    // 0000000066C8: BF800001
	buffer_store_dwordx4 v[16:19], v164, s[4:7], 0 offen       // 0000000066CC: E07C1000 800110A4
	v_add_u32_e32 v164, s62, v164                              // 0000000066D4: 6949483E
	v_accvgpr_read_b32 v8, a64                                 // 0000000066D8: D3D84008 18000140
	v_accvgpr_read_b32 v9, a65                                 // 0000000066E0: D3D84009 18000141
	v_accvgpr_read_b32 v10, a66                                // 0000000066E8: D3D8400A 18000142
	v_accvgpr_read_b32 v11, a67                                // 0000000066F0: D3D8400B 18000143
	v_accvgpr_read_b32 v12, a72                                // 0000000066F8: D3D8400C 18000148
	v_accvgpr_read_b32 v13, a73                                // 000000006700: D3D8400D 18000149
	v_accvgpr_read_b32 v14, a74                                // 000000006708: D3D8400E 1800014A
	v_accvgpr_read_b32 v15, a75                                // 000000006710: D3D8400F 1800014B
	v_cvt_pk_bf16_f32 v16, v8, v9                              // 000000006718: D2680010 00021308
	v_cvt_pk_bf16_f32 v17, v10, v11                            // 000000006720: D2680011 0002170A
	v_cvt_pk_bf16_f32 v18, v12, v13                            // 000000006728: D2680012 00021B0C
	v_cvt_pk_bf16_f32 v19, v14, v15                            // 000000006730: D2680013 00021F0E
	s_nop 1                                                    // 000000006738: BF800001
	v_permlane16_swap_b32_e32 v16, v18                         // 00000000673C: 7E20B312
	s_nop 1                                                    // 000000006740: BF800001
	v_permlane16_swap_b32_e32 v17, v19                         // 000000006744: 7E22B313
	s_nop 1                                                    // 000000006748: BF800001
	buffer_store_dwordx4 v[16:19], v164, s[4:7], 0 offen       // 00000000674C: E07C1000 800110A4
	v_add_u32_e32 v164, s62, v164                              // 000000006754: 6949483E
	v_accvgpr_read_b32 v8, a68                                 // 000000006758: D3D84008 18000144
	v_accvgpr_read_b32 v9, a69                                 // 000000006760: D3D84009 18000145
	v_accvgpr_read_b32 v10, a70                                // 000000006768: D3D8400A 18000146
	v_accvgpr_read_b32 v11, a71                                // 000000006770: D3D8400B 18000147
	v_accvgpr_read_b32 v12, a76                                // 000000006778: D3D8400C 1800014C
	v_accvgpr_read_b32 v13, a77                                // 000000006780: D3D8400D 1800014D
	v_accvgpr_read_b32 v14, a78                                // 000000006788: D3D8400E 1800014E
	v_accvgpr_read_b32 v15, a79                                // 000000006790: D3D8400F 1800014F
	v_cvt_pk_bf16_f32 v16, v8, v9                              // 000000006798: D2680010 00021308
	v_cvt_pk_bf16_f32 v17, v10, v11                            // 0000000067A0: D2680011 0002170A
	v_cvt_pk_bf16_f32 v18, v12, v13                            // 0000000067A8: D2680012 00021B0C
	v_cvt_pk_bf16_f32 v19, v14, v15                            // 0000000067B0: D2680013 00021F0E
	s_nop 1                                                    // 0000000067B8: BF800001
	v_permlane16_swap_b32_e32 v16, v18                         // 0000000067BC: 7E20B312
	s_nop 1                                                    // 0000000067C0: BF800001
	v_permlane16_swap_b32_e32 v17, v19                         // 0000000067C4: 7E22B313
	s_nop 1                                                    // 0000000067C8: BF800001
	buffer_store_dwordx4 v[16:19], v164, s[4:7], 0 offen       // 0000000067CC: E07C1000 800110A4
	v_add_u32_e32 v164, s62, v164                              // 0000000067D4: 6949483E
	v_accvgpr_read_b32 v8, a96                                 // 0000000067D8: D3D84008 18000160
	v_accvgpr_read_b32 v9, a97                                 // 0000000067E0: D3D84009 18000161
	v_accvgpr_read_b32 v10, a98                                // 0000000067E8: D3D8400A 18000162
	v_accvgpr_read_b32 v11, a99                                // 0000000067F0: D3D8400B 18000163
	v_accvgpr_read_b32 v12, a104                               // 0000000067F8: D3D8400C 18000168
	v_accvgpr_read_b32 v13, a105                               // 000000006800: D3D8400D 18000169
	v_accvgpr_read_b32 v14, a106                               // 000000006808: D3D8400E 1800016A
	v_accvgpr_read_b32 v15, a107                               // 000000006810: D3D8400F 1800016B
	v_cvt_pk_bf16_f32 v16, v8, v9                              // 000000006818: D2680010 00021308
	v_cvt_pk_bf16_f32 v17, v10, v11                            // 000000006820: D2680011 0002170A
	v_cvt_pk_bf16_f32 v18, v12, v13                            // 000000006828: D2680012 00021B0C
	v_cvt_pk_bf16_f32 v19, v14, v15                            // 000000006830: D2680013 00021F0E
	s_nop 1                                                    // 000000006838: BF800001
	v_permlane16_swap_b32_e32 v16, v18                         // 00000000683C: 7E20B312
	s_nop 1                                                    // 000000006840: BF800001
	v_permlane16_swap_b32_e32 v17, v19                         // 000000006844: 7E22B313
	s_nop 1                                                    // 000000006848: BF800001
	buffer_store_dwordx4 v[16:19], v164, s[4:7], 0 offen       // 00000000684C: E07C1000 800110A4
	v_add_u32_e32 v164, s62, v164                              // 000000006854: 6949483E
	v_accvgpr_read_b32 v8, a100                                // 000000006858: D3D84008 18000164
	v_accvgpr_read_b32 v9, a101                                // 000000006860: D3D84009 18000165
	v_accvgpr_read_b32 v10, a102                               // 000000006868: D3D8400A 18000166
	v_accvgpr_read_b32 v11, a103                               // 000000006870: D3D8400B 18000167
	v_accvgpr_read_b32 v12, a108                               // 000000006878: D3D8400C 1800016C
	v_accvgpr_read_b32 v13, a109                               // 000000006880: D3D8400D 1800016D
	v_accvgpr_read_b32 v14, a110                               // 000000006888: D3D8400E 1800016E
	v_accvgpr_read_b32 v15, a111                               // 000000006890: D3D8400F 1800016F
	v_cvt_pk_bf16_f32 v16, v8, v9                              // 000000006898: D2680010 00021308
	v_cvt_pk_bf16_f32 v17, v10, v11                            // 0000000068A0: D2680011 0002170A
	v_cvt_pk_bf16_f32 v18, v12, v13                            // 0000000068A8: D2680012 00021B0C
	v_cvt_pk_bf16_f32 v19, v14, v15                            // 0000000068B0: D2680013 00021F0E
	s_nop 1                                                    // 0000000068B8: BF800001
	v_permlane16_swap_b32_e32 v16, v18                         // 0000000068BC: 7E20B312
	s_nop 1                                                    // 0000000068C0: BF800001
	v_permlane16_swap_b32_e32 v17, v19                         // 0000000068C4: 7E22B313
	s_nop 1                                                    // 0000000068C8: BF800001
	buffer_store_dwordx4 v[16:19], v164, s[4:7], 0 offen       // 0000000068CC: E07C1000 800110A4
	v_add_u32_e32 v164, s62, v164                              // 0000000068D4: 6949483E
	v_add_u32_e32 v164, 64, v160                               // 0000000068D8: 694940C0
	v_accvgpr_read_b32 v8, a16                                 // 0000000068DC: D3D84008 18000110
	v_accvgpr_read_b32 v9, a17                                 // 0000000068E4: D3D84009 18000111
	v_accvgpr_read_b32 v10, a18                                // 0000000068EC: D3D8400A 18000112
	v_accvgpr_read_b32 v11, a19                                // 0000000068F4: D3D8400B 18000113
	v_accvgpr_read_b32 v12, a24                                // 0000000068FC: D3D8400C 18000118
	v_accvgpr_read_b32 v13, a25                                // 000000006904: D3D8400D 18000119
	v_accvgpr_read_b32 v14, a26                                // 00000000690C: D3D8400E 1800011A
	v_accvgpr_read_b32 v15, a27                                // 000000006914: D3D8400F 1800011B
	v_cvt_pk_bf16_f32 v16, v8, v9                              // 00000000691C: D2680010 00021308
	v_cvt_pk_bf16_f32 v17, v10, v11                            // 000000006924: D2680011 0002170A
	v_cvt_pk_bf16_f32 v18, v12, v13                            // 00000000692C: D2680012 00021B0C
	v_cvt_pk_bf16_f32 v19, v14, v15                            // 000000006934: D2680013 00021F0E
	s_nop 1                                                    // 00000000693C: BF800001
	v_permlane16_swap_b32_e32 v16, v18                         // 000000006940: 7E20B312
	s_nop 1                                                    // 000000006944: BF800001
	v_permlane16_swap_b32_e32 v17, v19                         // 000000006948: 7E22B313
	s_nop 1                                                    // 00000000694C: BF800001
	buffer_store_dwordx4 v[16:19], v164, s[4:7], 0 offen       // 000000006950: E07C1000 800110A4
	v_add_u32_e32 v164, s62, v164                              // 000000006958: 6949483E
	v_accvgpr_read_b32 v8, a20                                 // 00000000695C: D3D84008 18000114
	v_accvgpr_read_b32 v9, a21                                 // 000000006964: D3D84009 18000115
	v_accvgpr_read_b32 v10, a22                                // 00000000696C: D3D8400A 18000116
	v_accvgpr_read_b32 v11, a23                                // 000000006974: D3D8400B 18000117
	v_accvgpr_read_b32 v12, a28                                // 00000000697C: D3D8400C 1800011C
	v_accvgpr_read_b32 v13, a29                                // 000000006984: D3D8400D 1800011D
	v_accvgpr_read_b32 v14, a30                                // 00000000698C: D3D8400E 1800011E
	v_accvgpr_read_b32 v15, a31                                // 000000006994: D3D8400F 1800011F
	v_cvt_pk_bf16_f32 v16, v8, v9                              // 00000000699C: D2680010 00021308
	v_cvt_pk_bf16_f32 v17, v10, v11                            // 0000000069A4: D2680011 0002170A
	v_cvt_pk_bf16_f32 v18, v12, v13                            // 0000000069AC: D2680012 00021B0C
	v_cvt_pk_bf16_f32 v19, v14, v15                            // 0000000069B4: D2680013 00021F0E
	s_nop 1                                                    // 0000000069BC: BF800001
	v_permlane16_swap_b32_e32 v16, v18                         // 0000000069C0: 7E20B312
	s_nop 1                                                    // 0000000069C4: BF800001
	v_permlane16_swap_b32_e32 v17, v19                         // 0000000069C8: 7E22B313
	s_nop 1                                                    // 0000000069CC: BF800001
	buffer_store_dwordx4 v[16:19], v164, s[4:7], 0 offen       // 0000000069D0: E07C1000 800110A4
	v_add_u32_e32 v164, s62, v164                              // 0000000069D8: 6949483E
	v_accvgpr_read_b32 v8, a48                                 // 0000000069DC: D3D84008 18000130
	v_accvgpr_read_b32 v9, a49                                 // 0000000069E4: D3D84009 18000131
	v_accvgpr_read_b32 v10, a50                                // 0000000069EC: D3D8400A 18000132
	v_accvgpr_read_b32 v11, a51                                // 0000000069F4: D3D8400B 18000133
	v_accvgpr_read_b32 v12, a56                                // 0000000069FC: D3D8400C 18000138
	v_accvgpr_read_b32 v13, a57                                // 000000006A04: D3D8400D 18000139
	v_accvgpr_read_b32 v14, a58                                // 000000006A0C: D3D8400E 1800013A
	v_accvgpr_read_b32 v15, a59                                // 000000006A14: D3D8400F 1800013B
	v_cvt_pk_bf16_f32 v16, v8, v9                              // 000000006A1C: D2680010 00021308
	v_cvt_pk_bf16_f32 v17, v10, v11                            // 000000006A24: D2680011 0002170A
	v_cvt_pk_bf16_f32 v18, v12, v13                            // 000000006A2C: D2680012 00021B0C
	v_cvt_pk_bf16_f32 v19, v14, v15                            // 000000006A34: D2680013 00021F0E
	s_nop 1                                                    // 000000006A3C: BF800001
	v_permlane16_swap_b32_e32 v16, v18                         // 000000006A40: 7E20B312
	s_nop 1                                                    // 000000006A44: BF800001
	v_permlane16_swap_b32_e32 v17, v19                         // 000000006A48: 7E22B313
	s_nop 1                                                    // 000000006A4C: BF800001
	buffer_store_dwordx4 v[16:19], v164, s[4:7], 0 offen       // 000000006A50: E07C1000 800110A4
	v_add_u32_e32 v164, s62, v164                              // 000000006A58: 6949483E
	v_accvgpr_read_b32 v8, a52                                 // 000000006A5C: D3D84008 18000134
	v_accvgpr_read_b32 v9, a53                                 // 000000006A64: D3D84009 18000135
	v_accvgpr_read_b32 v10, a54                                // 000000006A6C: D3D8400A 18000136
	v_accvgpr_read_b32 v11, a55                                // 000000006A74: D3D8400B 18000137
	v_accvgpr_read_b32 v12, a60                                // 000000006A7C: D3D8400C 1800013C
	v_accvgpr_read_b32 v13, a61                                // 000000006A84: D3D8400D 1800013D
	v_accvgpr_read_b32 v14, a62                                // 000000006A8C: D3D8400E 1800013E
	v_accvgpr_read_b32 v15, a63                                // 000000006A94: D3D8400F 1800013F
	v_cvt_pk_bf16_f32 v16, v8, v9                              // 000000006A9C: D2680010 00021308
	v_cvt_pk_bf16_f32 v17, v10, v11                            // 000000006AA4: D2680011 0002170A
	v_cvt_pk_bf16_f32 v18, v12, v13                            // 000000006AAC: D2680012 00021B0C
	v_cvt_pk_bf16_f32 v19, v14, v15                            // 000000006AB4: D2680013 00021F0E
	s_nop 1                                                    // 000000006ABC: BF800001
	v_permlane16_swap_b32_e32 v16, v18                         // 000000006AC0: 7E20B312
	s_nop 1                                                    // 000000006AC4: BF800001
	v_permlane16_swap_b32_e32 v17, v19                         // 000000006AC8: 7E22B313
	s_nop 1                                                    // 000000006ACC: BF800001
	buffer_store_dwordx4 v[16:19], v164, s[4:7], 0 offen       // 000000006AD0: E07C1000 800110A4
	v_add_u32_e32 v164, s62, v164                              // 000000006AD8: 6949483E
	v_accvgpr_read_b32 v8, a80                                 // 000000006ADC: D3D84008 18000150
	v_accvgpr_read_b32 v9, a81                                 // 000000006AE4: D3D84009 18000151
	v_accvgpr_read_b32 v10, a82                                // 000000006AEC: D3D8400A 18000152
	v_accvgpr_read_b32 v11, a83                                // 000000006AF4: D3D8400B 18000153
	v_accvgpr_read_b32 v12, a88                                // 000000006AFC: D3D8400C 18000158
	v_accvgpr_read_b32 v13, a89                                // 000000006B04: D3D8400D 18000159
	v_accvgpr_read_b32 v14, a90                                // 000000006B0C: D3D8400E 1800015A
	v_accvgpr_read_b32 v15, a91                                // 000000006B14: D3D8400F 1800015B
	v_cvt_pk_bf16_f32 v16, v8, v9                              // 000000006B1C: D2680010 00021308
	v_cvt_pk_bf16_f32 v17, v10, v11                            // 000000006B24: D2680011 0002170A
	v_cvt_pk_bf16_f32 v18, v12, v13                            // 000000006B2C: D2680012 00021B0C
	v_cvt_pk_bf16_f32 v19, v14, v15                            // 000000006B34: D2680013 00021F0E
	s_nop 1                                                    // 000000006B3C: BF800001
	v_permlane16_swap_b32_e32 v16, v18                         // 000000006B40: 7E20B312
	s_nop 1                                                    // 000000006B44: BF800001
	v_permlane16_swap_b32_e32 v17, v19                         // 000000006B48: 7E22B313
	s_nop 1                                                    // 000000006B4C: BF800001
	buffer_store_dwordx4 v[16:19], v164, s[4:7], 0 offen       // 000000006B50: E07C1000 800110A4
	v_add_u32_e32 v164, s62, v164                              // 000000006B58: 6949483E
	v_accvgpr_read_b32 v8, a84                                 // 000000006B5C: D3D84008 18000154
	v_accvgpr_read_b32 v9, a85                                 // 000000006B64: D3D84009 18000155
	v_accvgpr_read_b32 v10, a86                                // 000000006B6C: D3D8400A 18000156
	v_accvgpr_read_b32 v11, a87                                // 000000006B74: D3D8400B 18000157
	v_accvgpr_read_b32 v12, a92                                // 000000006B7C: D3D8400C 1800015C
	v_accvgpr_read_b32 v13, a93                                // 000000006B84: D3D8400D 1800015D
	v_accvgpr_read_b32 v14, a94                                // 000000006B8C: D3D8400E 1800015E
	v_accvgpr_read_b32 v15, a95                                // 000000006B94: D3D8400F 1800015F
	v_cvt_pk_bf16_f32 v16, v8, v9                              // 000000006B9C: D2680010 00021308
	v_cvt_pk_bf16_f32 v17, v10, v11                            // 000000006BA4: D2680011 0002170A
	v_cvt_pk_bf16_f32 v18, v12, v13                            // 000000006BAC: D2680012 00021B0C
	v_cvt_pk_bf16_f32 v19, v14, v15                            // 000000006BB4: D2680013 00021F0E
	s_nop 1                                                    // 000000006BBC: BF800001
	v_permlane16_swap_b32_e32 v16, v18                         // 000000006BC0: 7E20B312
	s_nop 1                                                    // 000000006BC4: BF800001
	v_permlane16_swap_b32_e32 v17, v19                         // 000000006BC8: 7E22B313
	s_nop 1                                                    // 000000006BCC: BF800001
	buffer_store_dwordx4 v[16:19], v164, s[4:7], 0 offen       // 000000006BD0: E07C1000 800110A4
	v_add_u32_e32 v164, s62, v164                              // 000000006BD8: 6949483E
	v_accvgpr_read_b32 v8, a112                                // 000000006BDC: D3D84008 18000170
	v_accvgpr_read_b32 v9, a113                                // 000000006BE4: D3D84009 18000171
	v_accvgpr_read_b32 v10, a114                               // 000000006BEC: D3D8400A 18000172
	v_accvgpr_read_b32 v11, a115                               // 000000006BF4: D3D8400B 18000173
	v_accvgpr_read_b32 v12, a120                               // 000000006BFC: D3D8400C 18000178
	v_accvgpr_read_b32 v13, a121                               // 000000006C04: D3D8400D 18000179
	v_accvgpr_read_b32 v14, a122                               // 000000006C0C: D3D8400E 1800017A
	v_accvgpr_read_b32 v15, a123                               // 000000006C14: D3D8400F 1800017B
	v_cvt_pk_bf16_f32 v16, v8, v9                              // 000000006C1C: D2680010 00021308
	v_cvt_pk_bf16_f32 v17, v10, v11                            // 000000006C24: D2680011 0002170A
	v_cvt_pk_bf16_f32 v18, v12, v13                            // 000000006C2C: D2680012 00021B0C
	v_cvt_pk_bf16_f32 v19, v14, v15                            // 000000006C34: D2680013 00021F0E
	s_nop 1                                                    // 000000006C3C: BF800001
	v_permlane16_swap_b32_e32 v16, v18                         // 000000006C40: 7E20B312
	s_nop 1                                                    // 000000006C44: BF800001
	v_permlane16_swap_b32_e32 v17, v19                         // 000000006C48: 7E22B313
	s_nop 1                                                    // 000000006C4C: BF800001
	buffer_store_dwordx4 v[16:19], v164, s[4:7], 0 offen       // 000000006C50: E07C1000 800110A4
	v_add_u32_e32 v164, s62, v164                              // 000000006C58: 6949483E
	v_accvgpr_read_b32 v8, a116                                // 000000006C5C: D3D84008 18000174
	v_accvgpr_read_b32 v9, a117                                // 000000006C64: D3D84009 18000175
	v_accvgpr_read_b32 v10, a118                               // 000000006C6C: D3D8400A 18000176
	v_accvgpr_read_b32 v11, a119                               // 000000006C74: D3D8400B 18000177
	v_accvgpr_read_b32 v12, a124                               // 000000006C7C: D3D8400C 1800017C
	v_accvgpr_read_b32 v13, a125                               // 000000006C84: D3D8400D 1800017D
	v_accvgpr_read_b32 v14, a126                               // 000000006C8C: D3D8400E 1800017E
	v_accvgpr_read_b32 v15, a127                               // 000000006C94: D3D8400F 1800017F
	v_cvt_pk_bf16_f32 v16, v8, v9                              // 000000006C9C: D2680010 00021308
	v_cvt_pk_bf16_f32 v17, v10, v11                            // 000000006CA4: D2680011 0002170A
	v_cvt_pk_bf16_f32 v18, v12, v13                            // 000000006CAC: D2680012 00021B0C
	v_cvt_pk_bf16_f32 v19, v14, v15                            // 000000006CB4: D2680013 00021F0E
	s_nop 1                                                    // 000000006CBC: BF800001
	v_permlane16_swap_b32_e32 v16, v18                         // 000000006CC0: 7E20B312
	s_nop 1                                                    // 000000006CC4: BF800001
	v_permlane16_swap_b32_e32 v17, v19                         // 000000006CC8: 7E22B313
	s_nop 1                                                    // 000000006CCC: BF800001
	buffer_store_dwordx4 v[16:19], v164, s[4:7], 0 offen       // 000000006CD0: E07C1000 800110A4
	v_add_u32_e32 v164, s62, v164                              // 000000006CD8: 6949483E
	s_branch label_1241                                        // 000000006CDC: BF820209

0000000000006ce0 <label_1038>:
	s_mul_i32 s62, s36, 16                                     // 000000006CE0: 923E9024
	s_cmp_lt_i32 s60, s44                                      // 000000006CE4: BF042C3C
	s_cbranch_scc0 label_1241                                  // 000000006CE8: BF840206
	s_addk_i32 s60, 0x20                                       // 000000006CEC: B73C0020
	v_add_u32_e32 v164, 0, v160                                // 000000006CF0: 69494080
	v_accvgpr_read_b32 v8, a0                                  // 000000006CF4: D3D84008 18000100
	v_accvgpr_read_b32 v9, a1                                  // 000000006CFC: D3D84009 18000101
	v_accvgpr_read_b32 v10, a2                                 // 000000006D04: D3D8400A 18000102
	v_accvgpr_read_b32 v11, a3                                 // 000000006D0C: D3D8400B 18000103
	v_accvgpr_read_b32 v12, a8                                 // 000000006D14: D3D8400C 18000108
	v_accvgpr_read_b32 v13, a9                                 // 000000006D1C: D3D8400D 18000109
	v_accvgpr_read_b32 v14, a10                                // 000000006D24: D3D8400E 1800010A
	v_accvgpr_read_b32 v15, a11                                // 000000006D2C: D3D8400F 1800010B
	v_cvt_pk_bf16_f32 v16, v8, v9                              // 000000006D34: D2680010 00021308
	v_cvt_pk_bf16_f32 v17, v10, v11                            // 000000006D3C: D2680011 0002170A
	v_cvt_pk_bf16_f32 v18, v12, v13                            // 000000006D44: D2680012 00021B0C
	v_cvt_pk_bf16_f32 v19, v14, v15                            // 000000006D4C: D2680013 00021F0E
	s_nop 1                                                    // 000000006D54: BF800001
	v_permlane16_swap_b32_e32 v16, v18                         // 000000006D58: 7E20B312
	s_nop 1                                                    // 000000006D5C: BF800001
	v_permlane16_swap_b32_e32 v17, v19                         // 000000006D60: 7E22B313
	s_nop 1                                                    // 000000006D64: BF800001
	buffer_store_dwordx4 v[16:19], v164, s[4:7], 0 offen       // 000000006D68: E07C1000 800110A4
	v_add_u32_e32 v164, s62, v164                              // 000000006D70: 6949483E
	v_accvgpr_read_b32 v8, a4                                  // 000000006D74: D3D84008 18000104
	v_accvgpr_read_b32 v9, a5                                  // 000000006D7C: D3D84009 18000105
	v_accvgpr_read_b32 v10, a6                                 // 000000006D84: D3D8400A 18000106
	v_accvgpr_read_b32 v11, a7                                 // 000000006D8C: D3D8400B 18000107
	v_accvgpr_read_b32 v12, a12                                // 000000006D94: D3D8400C 1800010C
	v_accvgpr_read_b32 v13, a13                                // 000000006D9C: D3D8400D 1800010D
	v_accvgpr_read_b32 v14, a14                                // 000000006DA4: D3D8400E 1800010E
	v_accvgpr_read_b32 v15, a15                                // 000000006DAC: D3D8400F 1800010F
	v_cvt_pk_bf16_f32 v16, v8, v9                              // 000000006DB4: D2680010 00021308
	v_cvt_pk_bf16_f32 v17, v10, v11                            // 000000006DBC: D2680011 0002170A
	v_cvt_pk_bf16_f32 v18, v12, v13                            // 000000006DC4: D2680012 00021B0C
	v_cvt_pk_bf16_f32 v19, v14, v15                            // 000000006DCC: D2680013 00021F0E
	s_nop 1                                                    // 000000006DD4: BF800001
	v_permlane16_swap_b32_e32 v16, v18                         // 000000006DD8: 7E20B312
	s_nop 1                                                    // 000000006DDC: BF800001
	v_permlane16_swap_b32_e32 v17, v19                         // 000000006DE0: 7E22B313
	s_nop 1                                                    // 000000006DE4: BF800001
	buffer_store_dwordx4 v[16:19], v164, s[4:7], 0 offen       // 000000006DE8: E07C1000 800110A4
	v_add_u32_e32 v164, s62, v164                              // 000000006DF0: 6949483E
	v_accvgpr_read_b32 v8, a32                                 // 000000006DF4: D3D84008 18000120
	v_accvgpr_read_b32 v9, a33                                 // 000000006DFC: D3D84009 18000121
	v_accvgpr_read_b32 v10, a34                                // 000000006E04: D3D8400A 18000122
	v_accvgpr_read_b32 v11, a35                                // 000000006E0C: D3D8400B 18000123
	v_accvgpr_read_b32 v12, a40                                // 000000006E14: D3D8400C 18000128
	v_accvgpr_read_b32 v13, a41                                // 000000006E1C: D3D8400D 18000129
	v_accvgpr_read_b32 v14, a42                                // 000000006E24: D3D8400E 1800012A
	v_accvgpr_read_b32 v15, a43                                // 000000006E2C: D3D8400F 1800012B
	v_cvt_pk_bf16_f32 v16, v8, v9                              // 000000006E34: D2680010 00021308
	v_cvt_pk_bf16_f32 v17, v10, v11                            // 000000006E3C: D2680011 0002170A
	v_cvt_pk_bf16_f32 v18, v12, v13                            // 000000006E44: D2680012 00021B0C
	v_cvt_pk_bf16_f32 v19, v14, v15                            // 000000006E4C: D2680013 00021F0E
	s_nop 1                                                    // 000000006E54: BF800001
	v_permlane16_swap_b32_e32 v16, v18                         // 000000006E58: 7E20B312
	s_nop 1                                                    // 000000006E5C: BF800001
	v_permlane16_swap_b32_e32 v17, v19                         // 000000006E60: 7E22B313
	s_nop 1                                                    // 000000006E64: BF800001
	buffer_store_dwordx4 v[16:19], v164, s[4:7], 0 offen       // 000000006E68: E07C1000 800110A4
	v_add_u32_e32 v164, s62, v164                              // 000000006E70: 6949483E
	v_accvgpr_read_b32 v8, a36                                 // 000000006E74: D3D84008 18000124
	v_accvgpr_read_b32 v9, a37                                 // 000000006E7C: D3D84009 18000125
	v_accvgpr_read_b32 v10, a38                                // 000000006E84: D3D8400A 18000126
	v_accvgpr_read_b32 v11, a39                                // 000000006E8C: D3D8400B 18000127
	v_accvgpr_read_b32 v12, a44                                // 000000006E94: D3D8400C 1800012C
	v_accvgpr_read_b32 v13, a45                                // 000000006E9C: D3D8400D 1800012D
	v_accvgpr_read_b32 v14, a46                                // 000000006EA4: D3D8400E 1800012E
	v_accvgpr_read_b32 v15, a47                                // 000000006EAC: D3D8400F 1800012F
	v_cvt_pk_bf16_f32 v16, v8, v9                              // 000000006EB4: D2680010 00021308
	v_cvt_pk_bf16_f32 v17, v10, v11                            // 000000006EBC: D2680011 0002170A
	v_cvt_pk_bf16_f32 v18, v12, v13                            // 000000006EC4: D2680012 00021B0C
	v_cvt_pk_bf16_f32 v19, v14, v15                            // 000000006ECC: D2680013 00021F0E
	s_nop 1                                                    // 000000006ED4: BF800001
	v_permlane16_swap_b32_e32 v16, v18                         // 000000006ED8: 7E20B312
	s_nop 1                                                    // 000000006EDC: BF800001
	v_permlane16_swap_b32_e32 v17, v19                         // 000000006EE0: 7E22B313
	s_nop 1                                                    // 000000006EE4: BF800001
	buffer_store_dwordx4 v[16:19], v164, s[4:7], 0 offen       // 000000006EE8: E07C1000 800110A4
	v_add_u32_e32 v164, s62, v164                              // 000000006EF0: 6949483E
	v_accvgpr_read_b32 v8, a64                                 // 000000006EF4: D3D84008 18000140
	v_accvgpr_read_b32 v9, a65                                 // 000000006EFC: D3D84009 18000141
	v_accvgpr_read_b32 v10, a66                                // 000000006F04: D3D8400A 18000142
	v_accvgpr_read_b32 v11, a67                                // 000000006F0C: D3D8400B 18000143
	v_accvgpr_read_b32 v12, a72                                // 000000006F14: D3D8400C 18000148
	v_accvgpr_read_b32 v13, a73                                // 000000006F1C: D3D8400D 18000149
	v_accvgpr_read_b32 v14, a74                                // 000000006F24: D3D8400E 1800014A
	v_accvgpr_read_b32 v15, a75                                // 000000006F2C: D3D8400F 1800014B
	v_cvt_pk_bf16_f32 v16, v8, v9                              // 000000006F34: D2680010 00021308
	v_cvt_pk_bf16_f32 v17, v10, v11                            // 000000006F3C: D2680011 0002170A
	v_cvt_pk_bf16_f32 v18, v12, v13                            // 000000006F44: D2680012 00021B0C
	v_cvt_pk_bf16_f32 v19, v14, v15                            // 000000006F4C: D2680013 00021F0E
	s_nop 1                                                    // 000000006F54: BF800001
	v_permlane16_swap_b32_e32 v16, v18                         // 000000006F58: 7E20B312
	s_nop 1                                                    // 000000006F5C: BF800001
	v_permlane16_swap_b32_e32 v17, v19                         // 000000006F60: 7E22B313
	s_nop 1                                                    // 000000006F64: BF800001
	buffer_store_dwordx4 v[16:19], v164, s[4:7], 0 offen       // 000000006F68: E07C1000 800110A4
	v_add_u32_e32 v164, s62, v164                              // 000000006F70: 6949483E
	v_accvgpr_read_b32 v8, a68                                 // 000000006F74: D3D84008 18000144
	v_accvgpr_read_b32 v9, a69                                 // 000000006F7C: D3D84009 18000145
	v_accvgpr_read_b32 v10, a70                                // 000000006F84: D3D8400A 18000146
	v_accvgpr_read_b32 v11, a71                                // 000000006F8C: D3D8400B 18000147
	v_accvgpr_read_b32 v12, a76                                // 000000006F94: D3D8400C 1800014C
	v_accvgpr_read_b32 v13, a77                                // 000000006F9C: D3D8400D 1800014D
	v_accvgpr_read_b32 v14, a78                                // 000000006FA4: D3D8400E 1800014E
	v_accvgpr_read_b32 v15, a79                                // 000000006FAC: D3D8400F 1800014F
	v_cvt_pk_bf16_f32 v16, v8, v9                              // 000000006FB4: D2680010 00021308
	v_cvt_pk_bf16_f32 v17, v10, v11                            // 000000006FBC: D2680011 0002170A
	v_cvt_pk_bf16_f32 v18, v12, v13                            // 000000006FC4: D2680012 00021B0C
	v_cvt_pk_bf16_f32 v19, v14, v15                            // 000000006FCC: D2680013 00021F0E
	s_nop 1                                                    // 000000006FD4: BF800001
	v_permlane16_swap_b32_e32 v16, v18                         // 000000006FD8: 7E20B312
	s_nop 1                                                    // 000000006FDC: BF800001
	v_permlane16_swap_b32_e32 v17, v19                         // 000000006FE0: 7E22B313
	s_nop 1                                                    // 000000006FE4: BF800001
	buffer_store_dwordx4 v[16:19], v164, s[4:7], 0 offen       // 000000006FE8: E07C1000 800110A4
	v_add_u32_e32 v164, s62, v164                              // 000000006FF0: 6949483E
	v_accvgpr_read_b32 v8, a96                                 // 000000006FF4: D3D84008 18000160
	v_accvgpr_read_b32 v9, a97                                 // 000000006FFC: D3D84009 18000161
	v_accvgpr_read_b32 v10, a98                                // 000000007004: D3D8400A 18000162
	v_accvgpr_read_b32 v11, a99                                // 00000000700C: D3D8400B 18000163
	v_accvgpr_read_b32 v12, a104                               // 000000007014: D3D8400C 18000168
	v_accvgpr_read_b32 v13, a105                               // 00000000701C: D3D8400D 18000169
	v_accvgpr_read_b32 v14, a106                               // 000000007024: D3D8400E 1800016A
	v_accvgpr_read_b32 v15, a107                               // 00000000702C: D3D8400F 1800016B
	v_cvt_pk_bf16_f32 v16, v8, v9                              // 000000007034: D2680010 00021308
	v_cvt_pk_bf16_f32 v17, v10, v11                            // 00000000703C: D2680011 0002170A
	v_cvt_pk_bf16_f32 v18, v12, v13                            // 000000007044: D2680012 00021B0C
	v_cvt_pk_bf16_f32 v19, v14, v15                            // 00000000704C: D2680013 00021F0E
	s_nop 1                                                    // 000000007054: BF800001
	v_permlane16_swap_b32_e32 v16, v18                         // 000000007058: 7E20B312
	s_nop 1                                                    // 00000000705C: BF800001
	v_permlane16_swap_b32_e32 v17, v19                         // 000000007060: 7E22B313
	s_nop 1                                                    // 000000007064: BF800001
	buffer_store_dwordx4 v[16:19], v164, s[4:7], 0 offen       // 000000007068: E07C1000 800110A4
	v_add_u32_e32 v164, s62, v164                              // 000000007070: 6949483E
	v_accvgpr_read_b32 v8, a100                                // 000000007074: D3D84008 18000164
	v_accvgpr_read_b32 v9, a101                                // 00000000707C: D3D84009 18000165
	v_accvgpr_read_b32 v10, a102                               // 000000007084: D3D8400A 18000166
	v_accvgpr_read_b32 v11, a103                               // 00000000708C: D3D8400B 18000167
	v_accvgpr_read_b32 v12, a108                               // 000000007094: D3D8400C 1800016C
	v_accvgpr_read_b32 v13, a109                               // 00000000709C: D3D8400D 1800016D
	v_accvgpr_read_b32 v14, a110                               // 0000000070A4: D3D8400E 1800016E
	v_accvgpr_read_b32 v15, a111                               // 0000000070AC: D3D8400F 1800016F
	v_cvt_pk_bf16_f32 v16, v8, v9                              // 0000000070B4: D2680010 00021308
	v_cvt_pk_bf16_f32 v17, v10, v11                            // 0000000070BC: D2680011 0002170A
	v_cvt_pk_bf16_f32 v18, v12, v13                            // 0000000070C4: D2680012 00021B0C
	v_cvt_pk_bf16_f32 v19, v14, v15                            // 0000000070CC: D2680013 00021F0E
	s_nop 1                                                    // 0000000070D4: BF800001
	v_permlane16_swap_b32_e32 v16, v18                         // 0000000070D8: 7E20B312
	s_nop 1                                                    // 0000000070DC: BF800001
	v_permlane16_swap_b32_e32 v17, v19                         // 0000000070E0: 7E22B313
	s_nop 1                                                    // 0000000070E4: BF800001
	buffer_store_dwordx4 v[16:19], v164, s[4:7], 0 offen       // 0000000070E8: E07C1000 800110A4
	v_add_u32_e32 v164, s62, v164                              // 0000000070F0: 6949483E
	s_cmp_lt_i32 s60, s44                                      // 0000000070F4: BF042C3C
	s_cbranch_scc0 label_1241                                  // 0000000070F8: BF840102
	s_addk_i32 s60, 0x20                                       // 0000000070FC: B73C0020
	v_add_u32_e32 v164, 64, v160                               // 000000007100: 694940C0
	v_accvgpr_read_b32 v8, a16                                 // 000000007104: D3D84008 18000110
	v_accvgpr_read_b32 v9, a17                                 // 00000000710C: D3D84009 18000111
	v_accvgpr_read_b32 v10, a18                                // 000000007114: D3D8400A 18000112
	v_accvgpr_read_b32 v11, a19                                // 00000000711C: D3D8400B 18000113
	v_accvgpr_read_b32 v12, a24                                // 000000007124: D3D8400C 18000118
	v_accvgpr_read_b32 v13, a25                                // 00000000712C: D3D8400D 18000119
	v_accvgpr_read_b32 v14, a26                                // 000000007134: D3D8400E 1800011A
	v_accvgpr_read_b32 v15, a27                                // 00000000713C: D3D8400F 1800011B
	v_cvt_pk_bf16_f32 v16, v8, v9                              // 000000007144: D2680010 00021308
	v_cvt_pk_bf16_f32 v17, v10, v11                            // 00000000714C: D2680011 0002170A
	v_cvt_pk_bf16_f32 v18, v12, v13                            // 000000007154: D2680012 00021B0C
	v_cvt_pk_bf16_f32 v19, v14, v15                            // 00000000715C: D2680013 00021F0E
	s_nop 1                                                    // 000000007164: BF800001
	v_permlane16_swap_b32_e32 v16, v18                         // 000000007168: 7E20B312
	s_nop 1                                                    // 00000000716C: BF800001
	v_permlane16_swap_b32_e32 v17, v19                         // 000000007170: 7E22B313
	s_nop 1                                                    // 000000007174: BF800001
	buffer_store_dwordx4 v[16:19], v164, s[4:7], 0 offen       // 000000007178: E07C1000 800110A4
	v_add_u32_e32 v164, s62, v164                              // 000000007180: 6949483E
	v_accvgpr_read_b32 v8, a20                                 // 000000007184: D3D84008 18000114
	v_accvgpr_read_b32 v9, a21                                 // 00000000718C: D3D84009 18000115
	v_accvgpr_read_b32 v10, a22                                // 000000007194: D3D8400A 18000116
	v_accvgpr_read_b32 v11, a23                                // 00000000719C: D3D8400B 18000117
	v_accvgpr_read_b32 v12, a28                                // 0000000071A4: D3D8400C 1800011C
	v_accvgpr_read_b32 v13, a29                                // 0000000071AC: D3D8400D 1800011D
	v_accvgpr_read_b32 v14, a30                                // 0000000071B4: D3D8400E 1800011E
	v_accvgpr_read_b32 v15, a31                                // 0000000071BC: D3D8400F 1800011F
	v_cvt_pk_bf16_f32 v16, v8, v9                              // 0000000071C4: D2680010 00021308
	v_cvt_pk_bf16_f32 v17, v10, v11                            // 0000000071CC: D2680011 0002170A
	v_cvt_pk_bf16_f32 v18, v12, v13                            // 0000000071D4: D2680012 00021B0C
	v_cvt_pk_bf16_f32 v19, v14, v15                            // 0000000071DC: D2680013 00021F0E
	s_nop 1                                                    // 0000000071E4: BF800001
	v_permlane16_swap_b32_e32 v16, v18                         // 0000000071E8: 7E20B312
	s_nop 1                                                    // 0000000071EC: BF800001
	v_permlane16_swap_b32_e32 v17, v19                         // 0000000071F0: 7E22B313
	s_nop 1                                                    // 0000000071F4: BF800001
	buffer_store_dwordx4 v[16:19], v164, s[4:7], 0 offen       // 0000000071F8: E07C1000 800110A4
	v_add_u32_e32 v164, s62, v164                              // 000000007200: 6949483E
	v_accvgpr_read_b32 v8, a48                                 // 000000007204: D3D84008 18000130
	v_accvgpr_read_b32 v9, a49                                 // 00000000720C: D3D84009 18000131
	v_accvgpr_read_b32 v10, a50                                // 000000007214: D3D8400A 18000132
	v_accvgpr_read_b32 v11, a51                                // 00000000721C: D3D8400B 18000133
	v_accvgpr_read_b32 v12, a56                                // 000000007224: D3D8400C 18000138
	v_accvgpr_read_b32 v13, a57                                // 00000000722C: D3D8400D 18000139
	v_accvgpr_read_b32 v14, a58                                // 000000007234: D3D8400E 1800013A
	v_accvgpr_read_b32 v15, a59                                // 00000000723C: D3D8400F 1800013B
	v_cvt_pk_bf16_f32 v16, v8, v9                              // 000000007244: D2680010 00021308
	v_cvt_pk_bf16_f32 v17, v10, v11                            // 00000000724C: D2680011 0002170A
	v_cvt_pk_bf16_f32 v18, v12, v13                            // 000000007254: D2680012 00021B0C
	v_cvt_pk_bf16_f32 v19, v14, v15                            // 00000000725C: D2680013 00021F0E
	s_nop 1                                                    // 000000007264: BF800001
	v_permlane16_swap_b32_e32 v16, v18                         // 000000007268: 7E20B312
	s_nop 1                                                    // 00000000726C: BF800001
	v_permlane16_swap_b32_e32 v17, v19                         // 000000007270: 7E22B313
	s_nop 1                                                    // 000000007274: BF800001
	buffer_store_dwordx4 v[16:19], v164, s[4:7], 0 offen       // 000000007278: E07C1000 800110A4
	v_add_u32_e32 v164, s62, v164                              // 000000007280: 6949483E
	v_accvgpr_read_b32 v8, a52                                 // 000000007284: D3D84008 18000134
	v_accvgpr_read_b32 v9, a53                                 // 00000000728C: D3D84009 18000135
	v_accvgpr_read_b32 v10, a54                                // 000000007294: D3D8400A 18000136
	v_accvgpr_read_b32 v11, a55                                // 00000000729C: D3D8400B 18000137
	v_accvgpr_read_b32 v12, a60                                // 0000000072A4: D3D8400C 1800013C
	v_accvgpr_read_b32 v13, a61                                // 0000000072AC: D3D8400D 1800013D
	v_accvgpr_read_b32 v14, a62                                // 0000000072B4: D3D8400E 1800013E
	v_accvgpr_read_b32 v15, a63                                // 0000000072BC: D3D8400F 1800013F
	v_cvt_pk_bf16_f32 v16, v8, v9                              // 0000000072C4: D2680010 00021308
	v_cvt_pk_bf16_f32 v17, v10, v11                            // 0000000072CC: D2680011 0002170A
	v_cvt_pk_bf16_f32 v18, v12, v13                            // 0000000072D4: D2680012 00021B0C
	v_cvt_pk_bf16_f32 v19, v14, v15                            // 0000000072DC: D2680013 00021F0E
	s_nop 1                                                    // 0000000072E4: BF800001
	v_permlane16_swap_b32_e32 v16, v18                         // 0000000072E8: 7E20B312
	s_nop 1                                                    // 0000000072EC: BF800001
	v_permlane16_swap_b32_e32 v17, v19                         // 0000000072F0: 7E22B313
	s_nop 1                                                    // 0000000072F4: BF800001
	buffer_store_dwordx4 v[16:19], v164, s[4:7], 0 offen       // 0000000072F8: E07C1000 800110A4
	v_add_u32_e32 v164, s62, v164                              // 000000007300: 6949483E
	v_accvgpr_read_b32 v8, a80                                 // 000000007304: D3D84008 18000150
	v_accvgpr_read_b32 v9, a81                                 // 00000000730C: D3D84009 18000151
	v_accvgpr_read_b32 v10, a82                                // 000000007314: D3D8400A 18000152
	v_accvgpr_read_b32 v11, a83                                // 00000000731C: D3D8400B 18000153
	v_accvgpr_read_b32 v12, a88                                // 000000007324: D3D8400C 18000158
	v_accvgpr_read_b32 v13, a89                                // 00000000732C: D3D8400D 18000159
	v_accvgpr_read_b32 v14, a90                                // 000000007334: D3D8400E 1800015A
	v_accvgpr_read_b32 v15, a91                                // 00000000733C: D3D8400F 1800015B
	v_cvt_pk_bf16_f32 v16, v8, v9                              // 000000007344: D2680010 00021308
	v_cvt_pk_bf16_f32 v17, v10, v11                            // 00000000734C: D2680011 0002170A
	v_cvt_pk_bf16_f32 v18, v12, v13                            // 000000007354: D2680012 00021B0C
	v_cvt_pk_bf16_f32 v19, v14, v15                            // 00000000735C: D2680013 00021F0E
	s_nop 1                                                    // 000000007364: BF800001
	v_permlane16_swap_b32_e32 v16, v18                         // 000000007368: 7E20B312
	s_nop 1                                                    // 00000000736C: BF800001
	v_permlane16_swap_b32_e32 v17, v19                         // 000000007370: 7E22B313
	s_nop 1                                                    // 000000007374: BF800001
	buffer_store_dwordx4 v[16:19], v164, s[4:7], 0 offen       // 000000007378: E07C1000 800110A4
	v_add_u32_e32 v164, s62, v164                              // 000000007380: 6949483E
	v_accvgpr_read_b32 v8, a84                                 // 000000007384: D3D84008 18000154
	v_accvgpr_read_b32 v9, a85                                 // 00000000738C: D3D84009 18000155
	v_accvgpr_read_b32 v10, a86                                // 000000007394: D3D8400A 18000156
	v_accvgpr_read_b32 v11, a87                                // 00000000739C: D3D8400B 18000157
	v_accvgpr_read_b32 v12, a92                                // 0000000073A4: D3D8400C 1800015C
	v_accvgpr_read_b32 v13, a93                                // 0000000073AC: D3D8400D 1800015D
	v_accvgpr_read_b32 v14, a94                                // 0000000073B4: D3D8400E 1800015E
	v_accvgpr_read_b32 v15, a95                                // 0000000073BC: D3D8400F 1800015F
	v_cvt_pk_bf16_f32 v16, v8, v9                              // 0000000073C4: D2680010 00021308
	v_cvt_pk_bf16_f32 v17, v10, v11                            // 0000000073CC: D2680011 0002170A
	v_cvt_pk_bf16_f32 v18, v12, v13                            // 0000000073D4: D2680012 00021B0C
	v_cvt_pk_bf16_f32 v19, v14, v15                            // 0000000073DC: D2680013 00021F0E
	s_nop 1                                                    // 0000000073E4: BF800001
	v_permlane16_swap_b32_e32 v16, v18                         // 0000000073E8: 7E20B312
	s_nop 1                                                    // 0000000073EC: BF800001
	v_permlane16_swap_b32_e32 v17, v19                         // 0000000073F0: 7E22B313
	s_nop 1                                                    // 0000000073F4: BF800001
	buffer_store_dwordx4 v[16:19], v164, s[4:7], 0 offen       // 0000000073F8: E07C1000 800110A4
	v_add_u32_e32 v164, s62, v164                              // 000000007400: 6949483E
	v_accvgpr_read_b32 v8, a112                                // 000000007404: D3D84008 18000170
	v_accvgpr_read_b32 v9, a113                                // 00000000740C: D3D84009 18000171
	v_accvgpr_read_b32 v10, a114                               // 000000007414: D3D8400A 18000172
	v_accvgpr_read_b32 v11, a115                               // 00000000741C: D3D8400B 18000173
	v_accvgpr_read_b32 v12, a120                               // 000000007424: D3D8400C 18000178
	v_accvgpr_read_b32 v13, a121                               // 00000000742C: D3D8400D 18000179
	v_accvgpr_read_b32 v14, a122                               // 000000007434: D3D8400E 1800017A
	v_accvgpr_read_b32 v15, a123                               // 00000000743C: D3D8400F 1800017B
	v_cvt_pk_bf16_f32 v16, v8, v9                              // 000000007444: D2680010 00021308
	v_cvt_pk_bf16_f32 v17, v10, v11                            // 00000000744C: D2680011 0002170A
	v_cvt_pk_bf16_f32 v18, v12, v13                            // 000000007454: D2680012 00021B0C
	v_cvt_pk_bf16_f32 v19, v14, v15                            // 00000000745C: D2680013 00021F0E
	s_nop 1                                                    // 000000007464: BF800001
	v_permlane16_swap_b32_e32 v16, v18                         // 000000007468: 7E20B312
	s_nop 1                                                    // 00000000746C: BF800001
	v_permlane16_swap_b32_e32 v17, v19                         // 000000007470: 7E22B313
	s_nop 1                                                    // 000000007474: BF800001
	buffer_store_dwordx4 v[16:19], v164, s[4:7], 0 offen       // 000000007478: E07C1000 800110A4
	v_add_u32_e32 v164, s62, v164                              // 000000007480: 6949483E
	v_accvgpr_read_b32 v8, a116                                // 000000007484: D3D84008 18000174
	v_accvgpr_read_b32 v9, a117                                // 00000000748C: D3D84009 18000175
	v_accvgpr_read_b32 v10, a118                               // 000000007494: D3D8400A 18000176
	v_accvgpr_read_b32 v11, a119                               // 00000000749C: D3D8400B 18000177
	v_accvgpr_read_b32 v12, a124                               // 0000000074A4: D3D8400C 1800017C
	v_accvgpr_read_b32 v13, a125                               // 0000000074AC: D3D8400D 1800017D
	v_accvgpr_read_b32 v14, a126                               // 0000000074B4: D3D8400E 1800017E
	v_accvgpr_read_b32 v15, a127                               // 0000000074BC: D3D8400F 1800017F
	v_cvt_pk_bf16_f32 v16, v8, v9                              // 0000000074C4: D2680010 00021308
	v_cvt_pk_bf16_f32 v17, v10, v11                            // 0000000074CC: D2680011 0002170A
	v_cvt_pk_bf16_f32 v18, v12, v13                            // 0000000074D4: D2680012 00021B0C
	v_cvt_pk_bf16_f32 v19, v14, v15                            // 0000000074DC: D2680013 00021F0E
	s_nop 1                                                    // 0000000074E4: BF800001
	v_permlane16_swap_b32_e32 v16, v18                         // 0000000074E8: 7E20B312
	s_nop 1                                                    // 0000000074EC: BF800001
	v_permlane16_swap_b32_e32 v17, v19                         // 0000000074F0: 7E22B313
	s_nop 1                                                    // 0000000074F4: BF800001
	buffer_store_dwordx4 v[16:19], v164, s[4:7], 0 offen       // 0000000074F8: E07C1000 800110A4
	v_add_u32_e32 v164, s62, v164                              // 000000007500: 6949483E

0000000000007504 <label_1241>:
	s_waitcnt vmcnt(0) expcnt(0) lgkmcnt(0)                    // 000000007504: BF8C0000
	s_endpgm                                                   // 000000007508: BF810000
